;; amdgpu-corpus repo=ROCm/rocFFT kind=compiled arch=gfx1030 opt=O3
	.text
	.amdgcn_target "amdgcn-amd-amdhsa--gfx1030"
	.amdhsa_code_object_version 6
	.protected	fft_rtc_fwd_len1638_factors_13_2_3_7_3_wgs_182_tpt_182_halfLds_dp_ip_CI_unitstride_sbrr_R2C_dirReg ; -- Begin function fft_rtc_fwd_len1638_factors_13_2_3_7_3_wgs_182_tpt_182_halfLds_dp_ip_CI_unitstride_sbrr_R2C_dirReg
	.globl	fft_rtc_fwd_len1638_factors_13_2_3_7_3_wgs_182_tpt_182_halfLds_dp_ip_CI_unitstride_sbrr_R2C_dirReg
	.p2align	8
	.type	fft_rtc_fwd_len1638_factors_13_2_3_7_3_wgs_182_tpt_182_halfLds_dp_ip_CI_unitstride_sbrr_R2C_dirReg,@function
fft_rtc_fwd_len1638_factors_13_2_3_7_3_wgs_182_tpt_182_halfLds_dp_ip_CI_unitstride_sbrr_R2C_dirReg: ; @fft_rtc_fwd_len1638_factors_13_2_3_7_3_wgs_182_tpt_182_halfLds_dp_ip_CI_unitstride_sbrr_R2C_dirReg
; %bb.0:
	s_mov_b64 s[46:47], s[2:3]
	s_mov_b64 s[44:45], s[0:1]
	s_clause 0x2
	s_load_dwordx4 s[8:11], s[4:5], 0x0
	s_load_dwordx2 s[2:3], s[4:5], 0x50
	s_load_dwordx2 s[12:13], s[4:5], 0x18
	v_mul_u32_u24_e32 v1, 0x169, v0
	v_mov_b32_e32 v3, 0
	s_add_u32 s44, s44, s7
	s_addc_u32 s45, s45, 0
	v_add_nc_u32_sdwa v5, s6, v1 dst_sel:DWORD dst_unused:UNUSED_PAD src0_sel:DWORD src1_sel:WORD_1
	v_mov_b32_e32 v1, 0
	v_mov_b32_e32 v6, v3
	;; [unrolled: 1-line block ×3, first 2 shown]
	s_waitcnt lgkmcnt(0)
	v_cmp_lt_u64_e64 s0, s[10:11], 2
	s_and_b32 vcc_lo, exec_lo, s0
	s_cbranch_vccnz .LBB0_8
; %bb.1:
	s_load_dwordx2 s[0:1], s[4:5], 0x10
	v_mov_b32_e32 v1, 0
	s_add_u32 s6, s12, 8
	v_mov_b32_e32 v2, 0
	s_addc_u32 s7, s13, 0
	s_mov_b64 s[16:17], 1
	s_waitcnt lgkmcnt(0)
	s_add_u32 s14, s0, 8
	s_addc_u32 s15, s1, 0
.LBB0_2:                                ; =>This Inner Loop Header: Depth=1
	s_load_dwordx2 s[18:19], s[14:15], 0x0
                                        ; implicit-def: $vgpr7_vgpr8
	s_mov_b32 s0, exec_lo
	s_waitcnt lgkmcnt(0)
	v_or_b32_e32 v4, s19, v6
	v_cmpx_ne_u64_e32 0, v[3:4]
	s_xor_b32 s1, exec_lo, s0
	s_cbranch_execz .LBB0_4
; %bb.3:                                ;   in Loop: Header=BB0_2 Depth=1
	v_cvt_f32_u32_e32 v4, s18
	v_cvt_f32_u32_e32 v7, s19
	s_sub_u32 s0, 0, s18
	s_subb_u32 s20, 0, s19
	v_fmac_f32_e32 v4, 0x4f800000, v7
	v_rcp_f32_e32 v4, v4
	v_mul_f32_e32 v4, 0x5f7ffffc, v4
	v_mul_f32_e32 v7, 0x2f800000, v4
	v_trunc_f32_e32 v7, v7
	v_fmac_f32_e32 v4, 0xcf800000, v7
	v_cvt_u32_f32_e32 v7, v7
	v_cvt_u32_f32_e32 v4, v4
	v_mul_lo_u32 v8, s0, v7
	v_mul_hi_u32 v9, s0, v4
	v_mul_lo_u32 v10, s20, v4
	v_add_nc_u32_e32 v8, v9, v8
	v_mul_lo_u32 v9, s0, v4
	v_add_nc_u32_e32 v8, v8, v10
	v_mul_hi_u32 v10, v4, v9
	v_mul_lo_u32 v11, v4, v8
	v_mul_hi_u32 v12, v4, v8
	v_mul_hi_u32 v13, v7, v9
	v_mul_lo_u32 v9, v7, v9
	v_mul_hi_u32 v14, v7, v8
	v_mul_lo_u32 v8, v7, v8
	v_add_co_u32 v10, vcc_lo, v10, v11
	v_add_co_ci_u32_e32 v11, vcc_lo, 0, v12, vcc_lo
	v_add_co_u32 v9, vcc_lo, v10, v9
	v_add_co_ci_u32_e32 v9, vcc_lo, v11, v13, vcc_lo
	v_add_co_ci_u32_e32 v10, vcc_lo, 0, v14, vcc_lo
	v_add_co_u32 v8, vcc_lo, v9, v8
	v_add_co_ci_u32_e32 v9, vcc_lo, 0, v10, vcc_lo
	v_add_co_u32 v4, vcc_lo, v4, v8
	v_add_co_ci_u32_e32 v7, vcc_lo, v7, v9, vcc_lo
	v_mul_hi_u32 v8, s0, v4
	v_mul_lo_u32 v10, s20, v4
	v_mul_lo_u32 v9, s0, v7
	v_add_nc_u32_e32 v8, v8, v9
	v_mul_lo_u32 v9, s0, v4
	v_add_nc_u32_e32 v8, v8, v10
	v_mul_hi_u32 v10, v4, v9
	v_mul_lo_u32 v11, v4, v8
	v_mul_hi_u32 v12, v4, v8
	v_mul_hi_u32 v13, v7, v9
	v_mul_lo_u32 v9, v7, v9
	v_mul_hi_u32 v14, v7, v8
	v_mul_lo_u32 v8, v7, v8
	v_add_co_u32 v10, vcc_lo, v10, v11
	v_add_co_ci_u32_e32 v11, vcc_lo, 0, v12, vcc_lo
	v_add_co_u32 v9, vcc_lo, v10, v9
	v_add_co_ci_u32_e32 v9, vcc_lo, v11, v13, vcc_lo
	v_add_co_ci_u32_e32 v10, vcc_lo, 0, v14, vcc_lo
	v_add_co_u32 v8, vcc_lo, v9, v8
	v_add_co_ci_u32_e32 v9, vcc_lo, 0, v10, vcc_lo
	v_add_co_u32 v4, vcc_lo, v4, v8
	v_add_co_ci_u32_e32 v11, vcc_lo, v7, v9, vcc_lo
	v_mul_hi_u32 v13, v5, v4
	v_mad_u64_u32 v[9:10], null, v6, v4, 0
	v_mad_u64_u32 v[7:8], null, v5, v11, 0
	;; [unrolled: 1-line block ×3, first 2 shown]
	v_add_co_u32 v4, vcc_lo, v13, v7
	v_add_co_ci_u32_e32 v7, vcc_lo, 0, v8, vcc_lo
	v_add_co_u32 v4, vcc_lo, v4, v9
	v_add_co_ci_u32_e32 v4, vcc_lo, v7, v10, vcc_lo
	v_add_co_ci_u32_e32 v7, vcc_lo, 0, v12, vcc_lo
	v_add_co_u32 v4, vcc_lo, v4, v11
	v_add_co_ci_u32_e32 v9, vcc_lo, 0, v7, vcc_lo
	v_mul_lo_u32 v10, s19, v4
	v_mad_u64_u32 v[7:8], null, s18, v4, 0
	v_mul_lo_u32 v11, s18, v9
	v_sub_co_u32 v7, vcc_lo, v5, v7
	v_add3_u32 v8, v8, v11, v10
	v_sub_nc_u32_e32 v10, v6, v8
	v_subrev_co_ci_u32_e64 v10, s0, s19, v10, vcc_lo
	v_add_co_u32 v11, s0, v4, 2
	v_add_co_ci_u32_e64 v12, s0, 0, v9, s0
	v_sub_co_u32 v13, s0, v7, s18
	v_sub_co_ci_u32_e32 v8, vcc_lo, v6, v8, vcc_lo
	v_subrev_co_ci_u32_e64 v10, s0, 0, v10, s0
	v_cmp_le_u32_e32 vcc_lo, s18, v13
	v_cmp_eq_u32_e64 s0, s19, v8
	v_cndmask_b32_e64 v13, 0, -1, vcc_lo
	v_cmp_le_u32_e32 vcc_lo, s19, v10
	v_cndmask_b32_e64 v14, 0, -1, vcc_lo
	v_cmp_le_u32_e32 vcc_lo, s18, v7
	;; [unrolled: 2-line block ×3, first 2 shown]
	v_cndmask_b32_e64 v15, 0, -1, vcc_lo
	v_cmp_eq_u32_e32 vcc_lo, s19, v10
	v_cndmask_b32_e64 v7, v15, v7, s0
	v_cndmask_b32_e32 v10, v14, v13, vcc_lo
	v_add_co_u32 v13, vcc_lo, v4, 1
	v_add_co_ci_u32_e32 v14, vcc_lo, 0, v9, vcc_lo
	v_cmp_ne_u32_e32 vcc_lo, 0, v10
	v_cndmask_b32_e32 v8, v14, v12, vcc_lo
	v_cndmask_b32_e32 v10, v13, v11, vcc_lo
	v_cmp_ne_u32_e32 vcc_lo, 0, v7
	v_cndmask_b32_e32 v8, v9, v8, vcc_lo
	v_cndmask_b32_e32 v7, v4, v10, vcc_lo
.LBB0_4:                                ;   in Loop: Header=BB0_2 Depth=1
	s_andn2_saveexec_b32 s0, s1
	s_cbranch_execz .LBB0_6
; %bb.5:                                ;   in Loop: Header=BB0_2 Depth=1
	v_cvt_f32_u32_e32 v4, s18
	s_sub_i32 s1, 0, s18
	v_rcp_iflag_f32_e32 v4, v4
	v_mul_f32_e32 v4, 0x4f7ffffe, v4
	v_cvt_u32_f32_e32 v4, v4
	v_mul_lo_u32 v7, s1, v4
	v_mul_hi_u32 v7, v4, v7
	v_add_nc_u32_e32 v4, v4, v7
	v_mul_hi_u32 v4, v5, v4
	v_mul_lo_u32 v7, v4, s18
	v_add_nc_u32_e32 v8, 1, v4
	v_sub_nc_u32_e32 v7, v5, v7
	v_subrev_nc_u32_e32 v9, s18, v7
	v_cmp_le_u32_e32 vcc_lo, s18, v7
	v_cndmask_b32_e32 v7, v7, v9, vcc_lo
	v_cndmask_b32_e32 v4, v4, v8, vcc_lo
	v_cmp_le_u32_e32 vcc_lo, s18, v7
	v_add_nc_u32_e32 v8, 1, v4
	v_cndmask_b32_e32 v7, v4, v8, vcc_lo
	v_mov_b32_e32 v8, v3
.LBB0_6:                                ;   in Loop: Header=BB0_2 Depth=1
	s_or_b32 exec_lo, exec_lo, s0
	s_load_dwordx2 s[0:1], s[6:7], 0x0
	v_mul_lo_u32 v4, v8, s18
	v_mul_lo_u32 v11, v7, s19
	v_mad_u64_u32 v[9:10], null, v7, s18, 0
	s_add_u32 s16, s16, 1
	s_addc_u32 s17, s17, 0
	s_add_u32 s6, s6, 8
	s_addc_u32 s7, s7, 0
	;; [unrolled: 2-line block ×3, first 2 shown]
	v_add3_u32 v4, v10, v11, v4
	v_sub_co_u32 v5, vcc_lo, v5, v9
	v_sub_co_ci_u32_e32 v4, vcc_lo, v6, v4, vcc_lo
	s_waitcnt lgkmcnt(0)
	v_mul_lo_u32 v6, s1, v5
	v_mul_lo_u32 v4, s0, v4
	v_mad_u64_u32 v[1:2], null, s0, v5, v[1:2]
	v_cmp_ge_u64_e64 s0, s[16:17], s[10:11]
	s_and_b32 vcc_lo, exec_lo, s0
	v_add3_u32 v2, v6, v2, v4
	s_cbranch_vccnz .LBB0_9
; %bb.7:                                ;   in Loop: Header=BB0_2 Depth=1
	v_mov_b32_e32 v5, v7
	v_mov_b32_e32 v6, v8
	s_branch .LBB0_2
.LBB0_8:
	v_mov_b32_e32 v8, v6
	v_mov_b32_e32 v7, v5
.LBB0_9:
	s_lshl_b64 s[0:1], s[10:11], 3
	v_mul_hi_u32 v3, 0x1681682, v0
	s_add_u32 s0, s12, s0
	s_addc_u32 s1, s13, s1
	s_load_dwordx2 s[0:1], s[0:1], 0x0
	s_load_dwordx2 s[4:5], s[4:5], 0x20
	v_mul_u32_u24_e32 v3, 0xb6, v3
	v_sub_nc_u32_e32 v72, v0, v3
	v_lshl_add_u32 v244, v72, 4, 0
	s_waitcnt lgkmcnt(0)
	v_mul_lo_u32 v4, s0, v8
	v_mul_lo_u32 v5, s1, v7
	v_mad_u64_u32 v[1:2], null, s0, v7, v[1:2]
	v_cmp_gt_u64_e32 vcc_lo, s[4:5], v[7:8]
	v_add3_u32 v2, v5, v2, v4
	v_lshlrev_b64 v[0:1], 4, v[1:2]
	buffer_store_dword v0, off, s[44:47], 0 ; 4-byte Folded Spill
	buffer_store_dword v1, off, s[44:47], 0 offset:4 ; 4-byte Folded Spill
	s_and_saveexec_b32 s1, vcc_lo
	s_cbranch_execz .LBB0_11
; %bb.10:
	s_clause 0x1
	buffer_load_dword v2, off, s[44:47], 0
	buffer_load_dword v3, off, s[44:47], 0 offset:4
	v_mov_b32_e32 v73, 0
	v_lshlrev_b64 v[0:1], 4, v[72:73]
	s_waitcnt vmcnt(1)
	v_add_co_u32 v2, s0, s2, v2
	s_waitcnt vmcnt(0)
	v_add_co_ci_u32_e64 v3, s0, s3, v3, s0
	v_add_co_u32 v16, s0, v2, v0
	v_add_co_ci_u32_e64 v17, s0, v3, v1, s0
	v_add_co_u32 v4, s0, 0x800, v16
	v_add_co_ci_u32_e64 v5, s0, 0, v17, s0
	v_add_co_u32 v8, s0, 0x1000, v16
	v_add_co_ci_u32_e64 v9, s0, 0, v17, s0
	v_add_co_u32 v12, s0, 0x2000, v16
	v_add_co_ci_u32_e64 v13, s0, 0, v17, s0
	v_add_co_u32 v18, s0, 0x2800, v16
	v_add_co_ci_u32_e64 v19, s0, 0, v17, s0
	v_add_co_u32 v20, s0, 0x3800, v16
	v_add_co_ci_u32_e64 v21, s0, 0, v17, s0
	v_add_co_u32 v24, s0, 0x4000, v16
	v_add_co_ci_u32_e64 v25, s0, 0, v17, s0
	v_add_co_u32 v28, s0, 0x4800, v16
	v_add_co_ci_u32_e64 v29, s0, 0, v17, s0
	v_add_co_u32 v32, s0, 0x5800, v16
	v_add_co_ci_u32_e64 v33, s0, 0, v17, s0
	s_clause 0x8
	global_load_dwordx4 v[0:3], v[16:17], off
	global_load_dwordx4 v[4:7], v[4:5], off offset:864
	global_load_dwordx4 v[8:11], v[8:9], off offset:1728
	;; [unrolled: 1-line block ×8, first 2 shown]
	s_waitcnt vmcnt(8)
	ds_write_b128 v244, v[0:3]
	s_waitcnt vmcnt(7)
	ds_write_b128 v244, v[4:7] offset:2912
	s_waitcnt vmcnt(6)
	ds_write_b128 v244, v[8:11] offset:5824
	;; [unrolled: 2-line block ×8, first 2 shown]
.LBB0_11:
	s_or_b32 exec_lo, exec_lo, s1
	s_waitcnt lgkmcnt(0)
	s_waitcnt_vscnt null, 0x0
	s_barrier
	buffer_gl0_inv
	ds_read_b128 v[20:23], v244 offset:2016
	ds_read_b128 v[12:15], v244 offset:24192
	;; [unrolled: 1-line block ×4, first 2 shown]
	s_mov_b32 s6, 0x4267c47c
	s_mov_b32 s7, 0xbfddbe06
	ds_read_b128 v[16:19], v244 offset:22176
	ds_read_b128 v[24:27], v244 offset:20160
	ds_read_b128 v[40:43], v244
	ds_read_b128 v[60:63], v244 offset:8064
	ds_read_b128 v[64:67], v244 offset:10080
	ds_read_b128 v[48:51], v244 offset:18144
	ds_read_b128 v[52:55], v244 offset:16128
	ds_read_b128 v[68:71], v244 offset:12096
	ds_read_b128 v[56:59], v244 offset:14112
	s_mov_b32 s10, 0x42a4c3d2
	s_mov_b32 s11, 0xbfea55e2
	;; [unrolled: 1-line block ×10, first 2 shown]
	s_waitcnt lgkmcnt(11)
	v_add_f64 v[78:79], v[22:23], -v[14:15]
	v_add_f64 v[76:77], v[20:21], -v[12:13]
	v_add_f64 v[92:93], v[20:21], v[12:13]
	v_add_f64 v[100:101], v[22:23], v[14:15]
	s_waitcnt lgkmcnt(8)
	v_add_f64 v[106:107], v[30:31], -v[18:19]
	v_add_f64 v[104:105], v[28:29], -v[16:17]
	s_waitcnt lgkmcnt(7)
	v_add_f64 v[170:171], v[34:35], -v[26:27]
	v_add_f64 v[176:177], v[32:33], -v[24:25]
	v_add_f64 v[160:161], v[28:29], v[16:17]
	v_add_f64 v[162:163], v[30:31], v[18:19]
	s_mov_b32 s14, 0xebaa3ed8
	s_mov_b32 s16, 0xb2365da1
	;; [unrolled: 1-line block ×6, first 2 shown]
	v_add_f64 v[148:149], v[32:33], v[24:25]
	v_add_f64 v[150:151], v[34:35], v[26:27]
	s_waitcnt lgkmcnt(3)
	v_add_f64 v[156:157], v[62:63], -v[50:51]
	v_add_f64 v[172:173], v[60:61], -v[48:49]
	s_mov_b32 s28, 0x24c2f84
	s_mov_b32 s22, 0x93053d00
	v_mul_f64 v[0:1], v[78:79], s[6:7]
	v_mul_f64 v[2:3], v[76:77], s[6:7]
	;; [unrolled: 1-line block ×15, first 2 shown]
	s_mov_b32 s29, 0xbfe5384d
	s_mov_b32 s23, 0xbfef11f4
	s_mov_b32 s35, 0x3fe5384d
	s_mov_b32 s37, 0x3fedeba7
	buffer_store_dword v0, off, s[44:47], 0 offset:8 ; 4-byte Folded Spill
	buffer_store_dword v1, off, s[44:47], 0 offset:12 ; 4-byte Folded Spill
	;; [unrolled: 1-line block ×4, first 2 shown]
	v_fma_f64 v[4:5], v[92:93], s[12:13], v[84:85]
	v_fma_f64 v[6:7], v[100:101], s[12:13], -v[86:87]
	v_fma_f64 v[8:9], v[160:161], s[12:13], v[102:103]
	v_fma_f64 v[10:11], v[162:163], s[12:13], -v[118:119]
	;; [unrolled: 2-line block ×4, first 2 shown]
	s_mov_b32 s34, s28
	s_mov_b32 s36, s18
	v_add_f64 v[136:137], v[60:61], v[48:49]
	v_mul_f64 v[120:121], v[176:177], s[30:31]
	v_add_f64 v[142:143], v[62:63], v[50:51]
	s_waitcnt lgkmcnt(2)
	v_add_f64 v[146:147], v[66:67], -v[54:55]
	v_add_f64 v[164:165], v[64:65], -v[52:53]
	v_mul_f64 v[98:99], v[156:157], s[18:19]
	v_mul_f64 v[110:111], v[172:173], s[18:19]
	;; [unrolled: 1-line block ×3, first 2 shown]
	v_fma_f64 v[152:153], v[148:149], s[14:15], v[96:97]
	v_fma_f64 v[154:155], v[150:151], s[14:15], -v[108:109]
	v_fma_f64 v[158:159], v[148:149], s[22:23], v[114:115]
	v_mul_f64 v[130:131], v[170:171], s[36:37]
	v_add_f64 v[4:5], v[40:41], v[4:5]
	v_add_f64 v[6:7], v[42:43], v[6:7]
	v_mul_f64 v[144:145], v[176:177], s[36:37]
	v_mul_f64 v[220:221], v[78:79], s[18:19]
	;; [unrolled: 1-line block ×5, first 2 shown]
	s_mov_b32 s24, 0xd0032e0c
	s_mov_b32 s25, 0xbfe7f3cc
	;; [unrolled: 1-line block ×6, first 2 shown]
	v_add_f64 v[132:133], v[64:65], v[52:53]
	v_add_f64 v[134:135], v[66:67], v[54:55]
	s_waitcnt lgkmcnt(0)
	v_add_f64 v[140:141], v[70:71], -v[58:59]
	v_mul_f64 v[122:123], v[172:173], s[34:35]
	v_fma_f64 v[166:167], v[150:151], s[22:23], -v[120:121]
	v_add_f64 v[168:169], v[68:69], -v[56:57]
	v_mul_f64 v[88:89], v[146:147], s[28:29]
	v_mul_f64 v[90:91], v[164:165], s[28:29]
	v_fma_f64 v[184:185], v[136:137], s[24:25], v[116:117]
	v_add_f64 v[4:5], v[36:37], v[4:5]
	v_add_f64 v[6:7], v[38:39], v[6:7]
	v_fma_f64 v[36:37], v[162:163], s[22:23], -v[138:139]
	v_add_f64 v[38:39], v[42:43], v[46:47]
	v_fma_f64 v[46:47], v[142:143], s[16:17], -v[110:111]
	v_mul_f64 v[180:181], v[156:157], s[38:39]
	v_mul_f64 v[182:183], v[172:173], s[38:39]
	v_fma_f64 v[190:191], v[92:93], s[16:17], v[220:221]
	v_mul_f64 v[196:197], v[106:107], s[34:35]
	v_fma_f64 v[198:199], v[100:101], s[16:17], -v[232:233]
	v_mul_f64 v[224:225], v[104:105], s[34:35]
	v_fma_f64 v[206:207], v[92:93], s[24:25], v[240:241]
	v_mul_f64 v[208:209], v[106:107], s[26:27]
	v_fma_f64 v[210:211], v[100:101], s[24:25], -v[242:243]
	v_mul_f64 v[234:235], v[104:105], s[26:27]
	v_mul_f64 v[94:95], v[146:147], s[26:27]
	v_mul_f64 v[126:127], v[164:165], s[26:27]
	v_fma_f64 v[188:189], v[142:143], s[24:25], -v[122:123]
	v_add_f64 v[192:193], v[68:69], v[56:57]
	v_add_f64 v[194:195], v[70:71], v[58:59]
	v_fma_f64 v[202:203], v[132:133], s[24:25], v[88:89]
	v_fma_f64 v[204:205], v[134:135], s[24:25], -v[90:91]
	v_add_f64 v[4:5], v[158:159], v[4:5]
	v_add_f64 v[6:7], v[166:167], v[6:7]
	v_mul_f64 v[186:187], v[164:165], s[10:11]
	v_add_f64 v[36:37], v[36:37], v[38:39]
	v_fma_f64 v[38:39], v[150:151], s[16:17], -v[144:145]
	v_mul_f64 v[200:201], v[170:171], s[38:39]
	v_mul_f64 v[230:231], v[176:177], s[38:39]
	;; [unrolled: 1-line block ×3, first 2 shown]
	v_fma_f64 v[212:213], v[160:161], s[24:25], v[196:197]
	v_add_f64 v[198:199], v[42:43], v[198:199]
	v_fma_f64 v[214:215], v[162:163], s[24:25], -v[224:225]
	v_add_f64 v[206:207], v[40:41], v[206:207]
	v_fma_f64 v[218:219], v[160:161], s[14:15], v[208:209]
	v_add_f64 v[210:211], v[42:43], v[210:211]
	v_fma_f64 v[222:223], v[162:163], s[14:15], -v[234:235]
	v_mul_f64 v[238:239], v[176:177], s[10:11]
	s_mov_b32 s43, 0x3fcea1e5
	s_mov_b32 s42, s30
	v_mul_f64 v[166:167], v[168:169], s[38:39]
	v_fma_f64 v[216:217], v[134:135], s[14:15], -v[126:127]
	s_mov_b32 s41, 0x3fea55e2
	s_mov_b32 s40, s10
	v_add_f64 v[4:5], v[184:185], v[4:5]
	v_mul_f64 v[184:185], v[146:147], s[10:11]
	v_add_f64 v[6:7], v[188:189], v[6:7]
	v_mul_f64 v[188:189], v[140:141], s[28:29]
	v_add_f64 v[36:37], v[38:39], v[36:37]
	v_fma_f64 v[38:39], v[142:143], s[4:5], -v[182:183]
	v_fma_f64 v[245:246], v[150:151], s[4:5], -v[230:231]
	v_mul_f64 v[158:159], v[140:141], s[38:39]
	s_mov_b32 s1, exec_lo
	s_waitcnt_vscnt null, 0x0
	s_barrier
	buffer_gl0_inv
	v_add_f64 v[206:207], v[218:219], v[206:207]
	v_fma_f64 v[218:219], v[148:149], s[12:13], v[236:237]
	v_add_f64 v[210:211], v[222:223], v[210:211]
	v_fma_f64 v[247:248], v[150:151], s[12:13], -v[238:239]
	v_mul_f64 v[222:223], v[172:173], s[42:43]
	v_add_f64 v[6:7], v[216:217], v[6:7]
	v_fma_f64 v[216:217], v[192:193], s[24:25], v[188:189]
	v_fma_f64 v[249:250], v[192:193], s[4:5], v[158:159]
	v_add_f64 v[247:248], v[247:248], v[210:211]
	v_fma_f64 v[82:83], v[142:143], s[22:23], -v[222:223]
	v_mul_f64 v[210:211], v[168:169], s[40:41]
	v_fma_f64 v[0:1], v[92:93], s[4:5], v[0:1]
	v_fma_f64 v[2:3], v[100:101], s[4:5], -v[2:3]
	v_add_f64 v[0:1], v[40:41], v[0:1]
	v_add_f64 v[2:3], v[42:43], v[2:3]
	v_add_f64 v[0:1], v[8:9], v[0:1]
	v_add_f64 v[2:3], v[10:11], v[2:3]
	v_fma_f64 v[8:9], v[160:161], s[22:23], v[128:129]
	v_add_f64 v[10:11], v[40:41], v[44:45]
	v_fma_f64 v[44:45], v[136:137], s[16:17], v[98:99]
	v_add_f64 v[0:1], v[152:153], v[0:1]
	v_add_f64 v[2:3], v[154:155], v[2:3]
	v_mul_f64 v[152:153], v[140:141], s[30:31]
	v_add_f64 v[8:9], v[8:9], v[10:11]
	v_fma_f64 v[10:11], v[148:149], s[16:17], v[130:131]
	v_mul_f64 v[154:155], v[168:169], s[30:31]
	v_add_f64 v[0:1], v[44:45], v[0:1]
	v_add_f64 v[2:3], v[46:47], v[2:3]
	;; [unrolled: 1-line block ×3, first 2 shown]
	v_fma_f64 v[44:45], v[132:133], s[14:15], v[94:95]
	v_add_f64 v[8:9], v[10:11], v[8:9]
	v_fma_f64 v[10:11], v[136:137], s[4:5], v[180:181]
	v_fma_f64 v[226:227], v[192:193], s[22:23], v[152:153]
	v_fma_f64 v[228:229], v[194:195], s[22:23], -v[154:155]
	v_mul_f64 v[190:191], v[168:169], s[28:29]
	v_add_f64 v[0:1], v[202:203], v[0:1]
	v_add_f64 v[2:3], v[204:205], v[2:3]
	;; [unrolled: 1-line block ×4, first 2 shown]
	v_fma_f64 v[212:213], v[148:149], s[4:5], v[200:201]
	v_add_f64 v[8:9], v[10:11], v[8:9]
	v_add_f64 v[10:11], v[38:39], v[36:37]
	v_fma_f64 v[36:37], v[132:133], s[12:13], v[184:185]
	v_fma_f64 v[38:39], v[134:135], s[12:13], -v[186:187]
	v_mul_f64 v[198:199], v[156:157], s[20:21]
	v_mul_f64 v[202:203], v[172:173], s[20:21]
	;; [unrolled: 1-line block ×3, first 2 shown]
	v_add_f64 v[4:5], v[44:45], v[4:5]
	v_fma_f64 v[44:45], v[194:195], s[4:5], -v[166:167]
	v_fma_f64 v[251:252], v[194:195], s[24:25], -v[190:191]
	v_add_f64 v[245:246], v[245:246], v[204:205]
	v_add_f64 v[46:47], v[212:213], v[46:47]
	v_mul_f64 v[204:205], v[146:147], s[42:43]
	v_mul_f64 v[212:213], v[164:165], s[42:43]
	v_add_f64 v[36:37], v[36:37], v[8:9]
	v_add_f64 v[38:39], v[38:39], v[10:11]
	v_fma_f64 v[253:254], v[136:137], s[14:15], v[198:199]
	v_fma_f64 v[73:74], v[142:143], s[14:15], -v[202:203]
	v_add_f64 v[8:9], v[226:227], v[0:1]
	v_add_f64 v[10:11], v[228:229], v[2:3]
	;; [unrolled: 1-line block ×3, first 2 shown]
	v_fma_f64 v[80:81], v[136:137], s[22:23], v[214:215]
	v_mul_f64 v[218:219], v[146:147], s[38:39]
	v_mul_f64 v[226:227], v[164:165], s[38:39]
	v_add_f64 v[6:7], v[44:45], v[6:7]
	v_mul_f64 v[206:207], v[140:141], s[40:41]
	v_add_f64 v[4:5], v[249:250], v[4:5]
	v_fma_f64 v[44:45], v[132:133], s[22:23], v[204:205]
	v_add_f64 v[0:1], v[216:217], v[36:37]
	v_add_f64 v[2:3], v[251:252], v[38:39]
	;; [unrolled: 1-line block ×4, first 2 shown]
	v_fma_f64 v[46:47], v[134:135], s[22:23], -v[212:213]
	v_mul_f64 v[216:217], v[140:141], s[18:19]
	v_add_f64 v[73:74], v[80:81], v[228:229]
	v_add_f64 v[80:81], v[82:83], v[247:248]
	v_fma_f64 v[82:83], v[132:133], s[4:5], v[218:219]
	v_fma_f64 v[245:246], v[134:135], s[4:5], -v[226:227]
	v_mul_f64 v[228:229], v[168:169], s[18:19]
	v_add_f64 v[36:37], v[44:45], v[36:37]
	v_fma_f64 v[44:45], v[192:193], s[12:13], v[206:207]
	v_add_f64 v[38:39], v[46:47], v[38:39]
	v_fma_f64 v[46:47], v[194:195], s[12:13], -v[210:211]
	v_add_f64 v[73:74], v[82:83], v[73:74]
	v_add_f64 v[80:81], v[245:246], v[80:81]
	v_fma_f64 v[82:83], v[192:193], s[16:17], v[216:217]
	v_fma_f64 v[245:246], v[194:195], s[16:17], -v[228:229]
	v_add_f64 v[44:45], v[44:45], v[36:37]
	v_add_f64 v[46:47], v[46:47], v[38:39]
	;; [unrolled: 1-line block ×4, first 2 shown]
	v_cmpx_gt_u32_e32 0x7e, v72
	s_cbranch_execz .LBB0_13
; %bb.12:
	s_clause 0x3
	buffer_load_dword v247, off, s[44:47], 0 offset:16
	buffer_load_dword v248, off, s[44:47], 0 offset:20
	;; [unrolled: 1-line block ×4, first 2 shown]
	v_add_f64 v[22:23], v[42:43], v[22:23]
	v_add_f64 v[20:21], v[40:41], v[20:21]
	v_mul_f64 v[81:82], v[92:93], s[16:17]
	v_mul_f64 v[73:74], v[92:93], s[24:25]
	;; [unrolled: 1-line block ×7, first 2 shown]
	v_add_f64 v[22:23], v[22:23], v[30:31]
	v_add_f64 v[20:21], v[20:21], v[28:29]
	v_mul_f64 v[28:29], v[100:101], s[22:23]
	v_mul_f64 v[30:31], v[162:163], s[4:5]
	v_add_f64 v[81:82], v[81:82], -v[220:221]
	v_mul_f64 v[220:221], v[142:143], s[12:13]
	v_add_f64 v[73:74], v[73:74], -v[240:241]
	v_mul_f64 v[240:241], v[162:163], s[16:17]
	v_add_f64 v[22:23], v[22:23], v[34:35]
	v_add_f64 v[20:21], v[20:21], v[32:33]
	v_mul_f64 v[32:33], v[78:79], s[30:31]
	v_fma_f64 v[34:35], v[76:77], s[42:43], v[28:29]
	v_fma_f64 v[28:29], v[76:77], s[30:31], v[28:29]
	v_mul_f64 v[75:76], v[92:93], s[12:13]
	v_mul_f64 v[77:78], v[100:101], s[16:17]
	;; [unrolled: 1-line block ×3, first 2 shown]
	v_fma_f64 v[245:246], v[104:105], s[6:7], v[30:31]
	v_fma_f64 v[30:31], v[104:105], s[38:39], v[30:31]
	v_add_f64 v[73:74], v[40:41], v[73:74]
	v_add_f64 v[81:82], v[40:41], v[81:82]
	;; [unrolled: 1-line block ×3, first 2 shown]
	v_mul_f64 v[240:241], v[192:193], s[22:23]
	v_add_f64 v[22:23], v[22:23], v[62:63]
	v_add_f64 v[20:21], v[20:21], v[60:61]
	v_mul_f64 v[60:61], v[150:151], s[24:25]
	v_mul_f64 v[62:63], v[92:93], s[4:5]
	v_fma_f64 v[104:105], v[92:93], s[22:23], v[32:33]
	v_fma_f64 v[32:33], v[92:93], s[22:23], -v[32:33]
	v_add_f64 v[34:35], v[42:43], v[34:35]
	v_mul_f64 v[92:93], v[92:93], s[14:15]
	v_add_f64 v[28:29], v[42:43], v[28:29]
	v_add_f64 v[77:78], v[232:233], v[77:78]
	;; [unrolled: 1-line block ×3, first 2 shown]
	v_fma_f64 v[178:179], v[160:161], s[4:5], v[106:107]
	v_fma_f64 v[106:107], v[160:161], s[4:5], -v[106:107]
	v_add_f64 v[75:76], v[75:76], -v[84:85]
	v_mul_f64 v[232:233], v[160:161], s[22:23]
	v_mul_f64 v[83:84], v[150:151], s[14:15]
	v_add_f64 v[22:23], v[22:23], v[66:67]
	v_add_f64 v[20:21], v[20:21], v[64:65]
	v_mul_f64 v[64:65], v[100:101], s[24:25]
	v_mul_f64 v[66:67], v[100:101], s[4:5]
	;; [unrolled: 1-line block ×3, first 2 shown]
	v_add_f64 v[104:105], v[40:41], v[104:105]
	v_add_f64 v[32:33], v[40:41], v[32:33]
	;; [unrolled: 1-line block ×3, first 2 shown]
	v_mul_f64 v[245:246], v[162:163], s[22:23]
	v_add_f64 v[92:93], v[92:93], -v[174:175]
	v_mul_f64 v[174:175], v[162:163], s[24:25]
	v_add_f64 v[28:29], v[30:31], v[28:29]
	v_mul_f64 v[30:31], v[160:161], s[24:25]
	v_add_f64 v[77:78], v[42:43], v[77:78]
	v_add_f64 v[79:80], v[42:43], v[79:80]
	;; [unrolled: 1-line block ×3, first 2 shown]
	v_add_f64 v[128:129], v[232:233], -v[128:129]
	v_add_f64 v[83:84], v[108:109], v[83:84]
	v_mul_f64 v[232:233], v[194:195], s[24:25]
	v_add_f64 v[22:23], v[22:23], v[70:71]
	v_add_f64 v[20:21], v[20:21], v[68:69]
	v_fma_f64 v[70:71], v[176:177], s[34:35], v[60:61]
	v_fma_f64 v[60:61], v[176:177], s[28:29], v[60:61]
	v_mul_f64 v[176:177], v[162:163], s[12:13]
	v_add_f64 v[64:65], v[242:243], v[64:65]
	v_mul_f64 v[162:163], v[162:163], s[14:15]
	v_add_f64 v[86:87], v[86:87], v[100:101]
	v_mul_f64 v[68:69], v[160:161], s[12:13]
	v_mul_f64 v[242:243], v[160:161], s[16:17]
	;; [unrolled: 1-line block ×4, first 2 shown]
	v_add_f64 v[104:105], v[178:179], v[104:105]
	v_mul_f64 v[178:179], v[150:151], s[22:23]
	v_add_f64 v[32:33], v[106:107], v[32:33]
	v_mul_f64 v[106:107], v[148:149], s[16:17]
	v_add_f64 v[92:93], v[40:41], v[92:93]
	v_add_f64 v[174:175], v[224:225], v[174:175]
	;; [unrolled: 1-line block ×3, first 2 shown]
	v_add_f64 v[30:31], v[30:31], -v[196:197]
	v_mul_f64 v[224:225], v[136:137], s[14:15]
	v_mul_f64 v[245:246], v[134:135], s[22:23]
	v_add_f64 v[22:23], v[22:23], v[58:59]
	v_add_f64 v[20:21], v[20:21], v[56:57]
	;; [unrolled: 1-line block ×3, first 2 shown]
	v_fma_f64 v[70:71], v[148:149], s[24:25], v[170:171]
	v_fma_f64 v[170:171], v[148:149], s[24:25], -v[170:171]
	v_add_f64 v[64:65], v[42:43], v[64:65]
	v_add_f64 v[162:163], v[234:235], v[162:163]
	;; [unrolled: 1-line block ×3, first 2 shown]
	v_mul_f64 v[234:235], v[148:149], s[4:5]
	v_add_f64 v[118:119], v[118:119], v[176:177]
	v_add_f64 v[68:69], v[68:69], -v[102:103]
	v_add_f64 v[28:29], v[60:61], v[28:29]
	v_add_f64 v[112:113], v[242:243], -v[112:113]
	v_mul_f64 v[60:61], v[194:195], s[14:15]
	v_add_f64 v[160:161], v[160:161], -v[208:209]
	v_mul_f64 v[56:57], v[142:143], s[24:25]
	v_add_f64 v[96:97], v[100:101], -v[96:97]
	v_add_f64 v[77:78], v[174:175], v[77:78]
	v_add_f64 v[79:80], v[138:139], v[79:80]
	;; [unrolled: 1-line block ×3, first 2 shown]
	v_add_f64 v[106:107], v[106:107], -v[130:131]
	v_add_f64 v[30:31], v[30:31], v[81:82]
	v_add_f64 v[22:23], v[22:23], v[54:55]
	;; [unrolled: 1-line block ×6, first 2 shown]
	v_fma_f64 v[170:171], v[136:137], s[12:13], v[156:157]
	v_add_f64 v[64:65], v[162:163], v[64:65]
	v_mul_f64 v[104:105], v[136:137], s[16:17]
	v_fma_f64 v[156:157], v[136:137], s[12:13], -v[156:157]
	v_add_f64 v[85:86], v[124:125], v[85:86]
	v_add_f64 v[200:201], v[234:235], -v[200:201]
	v_mul_f64 v[208:209], v[134:135], s[12:13]
	v_add_f64 v[52:53], v[112:113], v[75:76]
	v_fma_f64 v[58:59], v[168:169], s[20:21], v[60:61]
	v_fma_f64 v[60:61], v[168:169], s[26:27], v[60:61]
	v_mul_f64 v[168:169], v[136:137], s[4:5]
	v_mul_f64 v[162:163], v[132:133], s[24:25]
	v_add_f64 v[56:57], v[122:123], v[56:57]
	v_add_f64 v[81:82], v[224:225], -v[198:199]
	v_fma_f64 v[174:175], v[132:133], s[16:17], v[146:147]
	v_fma_f64 v[146:147], v[132:133], s[16:17], -v[146:147]
	v_mul_f64 v[196:197], v[194:195], s[22:23]
	v_add_f64 v[22:23], v[22:23], v[50:51]
	v_add_f64 v[20:21], v[20:21], v[48:49]
	;; [unrolled: 1-line block ×3, first 2 shown]
	v_mul_f64 v[242:243], v[194:195], s[4:5]
	v_mul_f64 v[176:177], v[192:193], s[4:5]
	v_add_f64 v[70:71], v[170:171], v[70:71]
	v_mul_f64 v[170:171], v[134:135], s[24:25]
	v_mul_f64 v[102:103], v[192:193], s[24:25]
	v_add_f64 v[32:33], v[156:157], v[32:33]
	v_mul_f64 v[156:157], v[132:133], s[14:15]
	v_add_f64 v[85:86], v[120:121], v[85:86]
	v_add_f64 v[30:31], v[200:201], v[30:31]
	v_mul_f64 v[234:235], v[192:193], s[12:13]
	v_fma_f64 v[138:139], v[192:193], s[14:15], v[140:141]
	v_fma_f64 v[140:141], v[192:193], s[14:15], -v[140:141]
	v_add_f64 v[100:101], v[168:169], -v[180:181]
	v_add_f64 v[87:88], v[162:163], -v[88:89]
	v_mul_f64 v[192:193], v[192:193], s[16:17]
	v_add_f64 v[22:23], v[22:23], v[26:27]
	v_add_f64 v[20:21], v[20:21], v[24:25]
	;; [unrolled: 1-line block ×5, first 2 shown]
	v_add_f64 v[85:86], v[156:157], -v[94:95]
	v_add_f64 v[30:31], v[81:82], v[30:31]
	v_add_f64 v[94:95], v[154:155], v[196:197]
	v_add_f64 v[81:82], v[102:103], -v[188:189]
	v_add_f64 v[18:19], v[22:23], v[18:19]
	v_add_f64 v[22:23], v[20:21], v[16:17]
	s_waitcnt vmcnt(2)
	v_add_f64 v[66:67], v[247:248], v[66:67]
	s_waitcnt vmcnt(0)
	v_add_f64 v[62:63], v[62:63], -v[249:250]
	v_fma_f64 v[249:250], v[172:173], s[10:11], v[220:221]
	v_fma_f64 v[172:173], v[172:173], s[40:41], v[220:221]
	v_mul_f64 v[220:221], v[134:135], s[16:17]
	v_mul_f64 v[247:248], v[148:149], s[22:23]
	v_mul_f64 v[148:149], v[148:149], s[12:13]
	v_add_f64 v[42:43], v[42:43], v[66:67]
	v_add_f64 v[40:41], v[40:41], v[62:63]
	v_mul_f64 v[62:63], v[150:151], s[12:13]
	v_add_f64 v[34:35], v[249:250], v[34:35]
	v_fma_f64 v[66:67], v[164:165], s[36:37], v[220:221]
	v_fma_f64 v[164:165], v[164:165], s[18:19], v[220:221]
	v_mul_f64 v[220:221], v[150:151], s[16:17]
	v_mul_f64 v[150:151], v[150:151], s[4:5]
	;; [unrolled: 1-line block ×3, first 2 shown]
	v_add_f64 v[148:149], v[148:149], -v[236:237]
	v_mul_f64 v[236:237], v[142:143], s[14:15]
	v_add_f64 v[28:29], v[172:173], v[28:29]
	v_mul_f64 v[172:173], v[136:137], s[24:25]
	v_add_f64 v[114:115], v[247:248], -v[114:115]
	v_mul_f64 v[136:137], v[136:137], s[22:23]
	v_add_f64 v[42:43], v[118:119], v[42:43]
	v_add_f64 v[40:41], v[68:69], v[40:41]
	;; [unrolled: 1-line block ×3, first 2 shown]
	v_mul_f64 v[238:239], v[142:143], s[4:5]
	v_mul_f64 v[142:143], v[142:143], s[22:23]
	v_add_f64 v[68:69], v[160:161], v[73:74]
	v_add_f64 v[144:145], v[144:145], v[220:221]
	;; [unrolled: 1-line block ×4, first 2 shown]
	v_mul_f64 v[66:67], v[134:135], s[14:15]
	v_mul_f64 v[134:135], v[134:135], s[4:5]
	v_add_f64 v[75:76], v[202:203], v[236:237]
	v_add_f64 v[110:111], v[110:111], v[249:250]
	v_add_f64 v[108:109], v[172:173], -v[116:117]
	v_add_f64 v[48:49], v[114:115], v[52:53]
	v_add_f64 v[28:29], v[164:165], v[28:29]
	v_mul_f64 v[164:165], v[132:133], s[12:13]
	v_mul_f64 v[230:231], v[132:133], s[22:23]
	;; [unrolled: 1-line block ×5, first 2 shown]
	v_add_f64 v[42:43], v[83:84], v[42:43]
	v_add_f64 v[83:84], v[104:105], -v[98:99]
	v_add_f64 v[62:63], v[62:63], v[64:65]
	v_add_f64 v[92:93], v[182:183], v[238:239]
	;; [unrolled: 1-line block ×6, first 2 shown]
	v_add_f64 v[64:65], v[136:137], -v[214:215]
	v_add_f64 v[52:53], v[148:149], v[68:69]
	v_add_f64 v[54:55], v[226:227], v[134:135]
	;; [unrolled: 1-line block ×7, first 2 shown]
	v_add_f64 v[68:69], v[132:133], -v[218:219]
	v_add_f64 v[42:43], v[110:111], v[42:43]
	v_add_f64 v[62:63], v[73:74], v[62:63]
	;; [unrolled: 1-line block ×6, first 2 shown]
	v_add_f64 v[92:93], v[164:165], -v[184:185]
	v_add_f64 v[40:41], v[100:101], v[50:51]
	v_add_f64 v[77:78], v[230:231], -v[204:205]
	v_add_f64 v[48:49], v[64:65], v[52:53]
	v_add_f64 v[50:51], v[228:229], v[194:195]
	;; [unrolled: 1-line block ×4, first 2 shown]
	v_add_f64 v[66:67], v[176:177], -v[158:159]
	v_add_f64 v[26:27], v[85:86], v[26:27]
	v_add_f64 v[89:90], v[90:91], v[42:43]
	;; [unrolled: 1-line block ×6, first 2 shown]
	v_add_f64 v[96:97], v[240:241], -v[152:153]
	v_add_f64 v[87:88], v[87:88], v[24:25]
	v_add_f64 v[75:76], v[190:191], v[232:233]
	;; [unrolled: 1-line block ×3, first 2 shown]
	v_add_f64 v[73:74], v[234:235], -v[206:207]
	v_add_f64 v[77:78], v[77:78], v[30:31]
	v_add_f64 v[62:63], v[192:193], -v[216:217]
	v_add_f64 v[68:69], v[68:69], v[48:49]
	v_add_f64 v[91:92], v[146:147], v[32:33]
	;; [unrolled: 1-line block ×14, first 2 shown]
	v_mad_u32_u24 v12, 0xc0, v72, v244
	v_add_f64 v[22:23], v[62:63], v[68:69]
	v_add_f64 v[18:19], v[140:141], v[91:92]
	ds_write_b128 v12, v[52:55]
	ds_write_b128 v12, v[48:51] offset:16
	ds_write_b128 v12, v[40:43] offset:32
	;; [unrolled: 1-line block ×12, first 2 shown]
.LBB0_13:
	s_or_b32 exec_lo, exec_lo, s1
	s_waitcnt lgkmcnt(0)
	s_barrier
	buffer_gl0_inv
	ds_read_b128 v[12:15], v244
	ds_read_b128 v[16:19], v244 offset:2912
	ds_read_b128 v[32:35], v244 offset:13104
	;; [unrolled: 1-line block ×7, first 2 shown]
	v_cmp_gt_u32_e64 s0, 0x5b, v72
	s_and_saveexec_b32 s1, s0
	s_cbranch_execz .LBB0_15
; %bb.14:
	ds_read_b128 v[36:39], v244 offset:11648
	ds_read_b128 v[44:47], v244 offset:24752
.LBB0_15:
	s_or_b32 exec_lo, exec_lo, s1
	v_and_b32_e32 v52, 0xff, v72
	v_add_nc_u32_e32 v56, 0xb6, v72
	v_mov_b32_e32 v57, 0x4ec5
	v_add_nc_u32_e32 v60, 0x16c, v72
	v_add_nc_u32_e32 v59, 0x222, v72
	v_mul_lo_u16 v55, 0x4f, v52
	v_mul_u32_u24_sdwa v54, v56, v57 dst_sel:DWORD dst_unused:UNUSED_PAD src0_sel:WORD_0 src1_sel:DWORD
	v_mul_u32_u24_sdwa v53, v60, v57 dst_sel:DWORD dst_unused:UNUSED_PAD src0_sel:WORD_0 src1_sel:DWORD
	;; [unrolled: 1-line block ×3, first 2 shown]
	v_lshrrev_b16 v75, 10, v55
	v_lshrrev_b32_e32 v92, 18, v54
	v_lshrrev_b32_e32 v93, 18, v53
	;; [unrolled: 1-line block ×3, first 2 shown]
	v_mul_lo_u16 v58, v75, 13
	v_mov_b32_e32 v52, 4
	v_mul_lo_u16 v61, v92, 13
	v_mul_lo_u16 v62, v93, 13
	;; [unrolled: 1-line block ×3, first 2 shown]
	v_sub_nc_u16 v58, v72, v58
	v_sub_nc_u16 v61, v56, v61
	;; [unrolled: 1-line block ×4, first 2 shown]
	v_lshlrev_b32_sdwa v95, v52, v58 dst_sel:DWORD dst_unused:UNUSED_PAD src0_sel:DWORD src1_sel:BYTE_0
	v_add_nc_u32_e32 v58, 0x2d8, v72
	v_lshlrev_b32_sdwa v96, v52, v61 dst_sel:DWORD dst_unused:UNUSED_PAD src0_sel:DWORD src1_sel:WORD_0
	v_lshlrev_b32_sdwa v97, v52, v62 dst_sel:DWORD dst_unused:UNUSED_PAD src0_sel:DWORD src1_sel:WORD_0
	;; [unrolled: 1-line block ×3, first 2 shown]
	global_load_dwordx4 v[62:65], v95, s[8:9]
	v_mul_u32_u24_sdwa v57, v58, v57 dst_sel:DWORD dst_unused:UNUSED_PAD src0_sel:WORD_0 src1_sel:DWORD
	s_clause 0x2
	global_load_dwordx4 v[66:69], v96, s[8:9]
	global_load_dwordx4 v[76:79], v97, s[8:9]
	;; [unrolled: 1-line block ×3, first 2 shown]
	v_lshrrev_b32_e32 v57, 18, v57
	v_mul_lo_u16 v61, v57, 13
	v_sub_nc_u16 v61, v58, v61
	v_lshlrev_b32_sdwa v61, v52, v61 dst_sel:DWORD dst_unused:UNUSED_PAD src0_sel:DWORD src1_sel:WORD_0
	global_load_dwordx4 v[84:87], v61, s[8:9]
	s_waitcnt vmcnt(0) lgkmcnt(0)
	s_barrier
	buffer_gl0_inv
	v_mul_f64 v[70:71], v[34:35], v[64:65]
	v_mul_f64 v[64:65], v[32:33], v[64:65]
	;; [unrolled: 1-line block ×8, first 2 shown]
	v_fma_f64 v[32:33], v[32:33], v[62:63], -v[70:71]
	v_fma_f64 v[34:35], v[34:35], v[62:63], v[64:65]
	v_fma_f64 v[62:63], v[28:29], v[66:67], -v[73:74]
	v_fma_f64 v[64:65], v[30:31], v[66:67], v[68:69]
	v_mul_f64 v[70:71], v[46:47], v[86:87]
	v_mul_f64 v[73:74], v[44:45], v[86:87]
	v_fma_f64 v[48:49], v[48:49], v[76:77], -v[88:89]
	v_fma_f64 v[50:51], v[50:51], v[76:77], v[78:79]
	v_fma_f64 v[66:67], v[40:41], v[80:81], -v[90:91]
	v_fma_f64 v[68:69], v[42:43], v[80:81], v[82:83]
	v_add_f64 v[28:29], v[12:13], -v[32:33]
	v_add_f64 v[30:31], v[14:15], -v[34:35]
	v_add_f64 v[32:33], v[16:17], -v[62:63]
	v_add_f64 v[34:35], v[18:19], -v[64:65]
	v_fma_f64 v[62:63], v[44:45], v[84:85], -v[70:71]
	v_fma_f64 v[64:65], v[46:47], v[84:85], v[73:74]
	v_add_f64 v[40:41], v[20:21], -v[48:49]
	v_add_f64 v[42:43], v[22:23], -v[50:51]
	;; [unrolled: 1-line block ×4, first 2 shown]
	v_mov_b32_e32 v66, 0x1a0
	v_fma_f64 v[44:45], v[12:13], 2.0, -v[28:29]
	v_fma_f64 v[46:47], v[14:15], 2.0, -v[30:31]
	;; [unrolled: 1-line block ×4, first 2 shown]
	v_add_f64 v[12:13], v[36:37], -v[62:63]
	v_add_f64 v[14:15], v[38:39], -v[64:65]
	v_fma_f64 v[20:21], v[20:21], 2.0, -v[40:41]
	v_fma_f64 v[22:23], v[22:23], 2.0, -v[42:43]
	;; [unrolled: 1-line block ×4, first 2 shown]
	v_mul_u32_u24_sdwa v62, v75, v66 dst_sel:DWORD dst_unused:UNUSED_PAD src0_sel:WORD_0 src1_sel:DWORD
	v_mul_u32_u24_e32 v63, 0x1a0, v92
	v_mul_u32_u24_e32 v64, 0x1a0, v93
	;; [unrolled: 1-line block ×3, first 2 shown]
	v_add3_u32 v62, 0, v62, v95
	v_add3_u32 v63, 0, v63, v96
	v_add3_u32 v64, 0, v64, v97
	v_add3_u32 v65, 0, v65, v98
	ds_write_b128 v62, v[28:31] offset:208
	ds_write_b128 v62, v[44:47]
	ds_write_b128 v63, v[16:19]
	ds_write_b128 v63, v[32:35] offset:208
	ds_write_b128 v64, v[20:23]
	ds_write_b128 v64, v[40:43] offset:208
	ds_write_b128 v65, v[24:27]
	ds_write_b128 v65, v[48:51] offset:208
	s_and_saveexec_b32 s1, s0
	s_cbranch_execz .LBB0_17
; %bb.16:
	v_fma_f64 v[18:19], v[38:39], 2.0, -v[14:15]
	v_fma_f64 v[16:17], v[36:37], 2.0, -v[12:13]
	v_mul_lo_u16 v20, v57, 26
	v_lshlrev_b32_sdwa v20, v52, v20 dst_sel:DWORD dst_unused:UNUSED_PAD src0_sel:DWORD src1_sel:WORD_0
	v_add3_u32 v20, 0, v61, v20
	ds_write_b128 v20, v[16:19]
	ds_write_b128 v20, v[12:15] offset:208
.LBB0_17:
	s_or_b32 exec_lo, exec_lo, s1
	v_lshrrev_b16 v55, 11, v55
	v_lshrrev_b32_e32 v57, 19, v54
	v_lshrrev_b32_e32 v71, 19, v53
	v_mov_b32_e32 v24, 5
	s_waitcnt lgkmcnt(0)
	v_mul_lo_u16 v16, v55, 26
	v_mul_lo_u16 v17, v57, 26
	s_barrier
	buffer_gl0_inv
	s_mov_b32 s4, 0xe8584caa
	v_sub_nc_u16 v92, v72, v16
	v_mul_lo_u16 v16, v71, 26
	v_sub_nc_u16 v93, v56, v17
	s_mov_b32 s5, 0x3febb67a
	s_mov_b32 s7, 0xbfebb67a
	v_lshlrev_b32_sdwa v20, v24, v92 dst_sel:DWORD dst_unused:UNUSED_PAD src0_sel:DWORD src1_sel:BYTE_0
	v_sub_nc_u16 v94, v60, v16
	v_lshlrev_b32_sdwa v28, v24, v93 dst_sel:DWORD dst_unused:UNUSED_PAD src0_sel:DWORD src1_sel:WORD_0
	s_mov_b32 s6, s4
	v_cmp_gt_u32_e64 s1, 52, v72
	s_clause 0x1
	global_load_dwordx4 v[16:19], v20, s[8:9] offset:208
	global_load_dwordx4 v[20:23], v20, s[8:9] offset:224
	v_lshlrev_b32_sdwa v36, v24, v94 dst_sel:DWORD dst_unused:UNUSED_PAD src0_sel:DWORD src1_sel:WORD_0
	s_clause 0x3
	global_load_dwordx4 v[24:27], v28, s[8:9] offset:208
	global_load_dwordx4 v[28:31], v28, s[8:9] offset:224
	;; [unrolled: 1-line block ×4, first 2 shown]
	ds_read_b128 v[40:43], v244 offset:8736
	ds_read_b128 v[44:47], v244 offset:17472
	;; [unrolled: 1-line block ×7, first 2 shown]
	s_waitcnt vmcnt(5) lgkmcnt(6)
	v_mul_f64 v[53:54], v[42:43], v[18:19]
	s_waitcnt vmcnt(4) lgkmcnt(5)
	v_mul_f64 v[69:70], v[46:47], v[22:23]
	v_mul_f64 v[18:19], v[40:41], v[18:19]
	v_mul_f64 v[22:23], v[44:45], v[22:23]
	s_waitcnt vmcnt(3) lgkmcnt(4)
	v_mul_f64 v[73:74], v[50:51], v[26:27]
	s_waitcnt vmcnt(2) lgkmcnt(3)
	v_mul_f64 v[84:85], v[63:64], v[30:31]
	v_mul_f64 v[26:27], v[48:49], v[26:27]
	v_mul_f64 v[30:31], v[61:62], v[30:31]
	;; [unrolled: 6-line block ×3, first 2 shown]
	v_fma_f64 v[40:41], v[40:41], v[16:17], -v[53:54]
	v_fma_f64 v[44:45], v[44:45], v[20:21], -v[69:70]
	v_fma_f64 v[42:43], v[42:43], v[16:17], v[18:19]
	v_fma_f64 v[46:47], v[46:47], v[20:21], v[22:23]
	v_fma_f64 v[48:49], v[48:49], v[24:25], -v[73:74]
	v_fma_f64 v[53:54], v[61:62], v[28:29], -v[84:85]
	v_fma_f64 v[24:25], v[50:51], v[24:25], v[26:27]
	v_fma_f64 v[30:31], v[63:64], v[28:29], v[30:31]
	;; [unrolled: 4-line block ×3, first 2 shown]
	ds_read_b128 v[16:19], v244
	ds_read_b128 v[20:23], v244 offset:2912
	s_waitcnt lgkmcnt(0)
	s_barrier
	buffer_gl0_inv
	v_add_f64 v[32:33], v[40:41], v[44:45]
	v_add_f64 v[86:87], v[40:41], -v[44:45]
	v_add_f64 v[36:37], v[42:43], v[46:47]
	v_add_f64 v[69:70], v[42:43], -v[46:47]
	;; [unrolled: 2-line block ×4, first 2 shown]
	v_add_f64 v[63:64], v[26:27], v[50:51]
	v_add_f64 v[67:68], v[16:17], v[40:41]
	;; [unrolled: 1-line block ×8, first 2 shown]
	v_fma_f64 v[16:17], v[32:33], -0.5, v[16:17]
	v_fma_f64 v[18:19], v[36:37], -0.5, v[18:19]
	;; [unrolled: 1-line block ×4, first 2 shown]
	v_add_f64 v[61:62], v[28:29], -v[34:35]
	v_fma_f64 v[63:64], v[63:64], -0.5, v[80:81]
	v_add_f64 v[79:80], v[26:27], -v[50:51]
	v_fma_f64 v[65:66], v[65:66], -0.5, v[82:83]
	v_add_f64 v[24:25], v[67:68], v[44:45]
	v_add_f64 v[26:27], v[42:43], v[46:47]
	v_add_f64 v[28:29], v[73:74], v[53:54]
	v_add_f64 v[30:31], v[75:76], v[30:31]
	v_add_f64 v[32:33], v[77:78], v[50:51]
	v_add_f64 v[34:35], v[84:85], v[34:35]
	v_mov_b32_e32 v81, 0x4e0
	v_mul_u32_u24_e32 v54, 0x4e0, v57
	v_mul_u32_u24_e32 v57, 0x4e0, v71
	v_mul_u32_u24_sdwa v53, v55, v81 dst_sel:DWORD dst_unused:UNUSED_PAD src0_sel:WORD_0 src1_sel:DWORD
	v_fma_f64 v[36:37], v[69:70], s[4:5], v[16:17]
	v_fma_f64 v[38:39], v[86:87], s[6:7], v[18:19]
	;; [unrolled: 1-line block ×12, first 2 shown]
	v_lshlrev_b32_sdwa v55, v52, v92 dst_sel:DWORD dst_unused:UNUSED_PAD src0_sel:DWORD src1_sel:BYTE_0
	v_lshlrev_b32_sdwa v61, v52, v93 dst_sel:DWORD dst_unused:UNUSED_PAD src0_sel:DWORD src1_sel:WORD_0
	v_lshlrev_b32_sdwa v52, v52, v94 dst_sel:DWORD dst_unused:UNUSED_PAD src0_sel:DWORD src1_sel:WORD_0
	v_add3_u32 v53, 0, v53, v55
	v_add3_u32 v54, 0, v54, v61
	;; [unrolled: 1-line block ×3, first 2 shown]
	ds_write_b128 v53, v[24:27]
	ds_write_b128 v53, v[36:39] offset:416
	ds_write_b128 v53, v[40:43] offset:832
	ds_write_b128 v54, v[28:31]
	ds_write_b128 v54, v[44:47] offset:416
	ds_write_b128 v54, v[48:51] offset:832
	;; [unrolled: 3-line block ×3, first 2 shown]
	s_waitcnt lgkmcnt(0)
	s_barrier
	buffer_gl0_inv
	ds_read_b128 v[28:31], v244
	ds_read_b128 v[48:51], v244 offset:3744
	ds_read_b128 v[44:47], v244 offset:7488
	ds_read_b128 v[36:39], v244 offset:11232
	ds_read_b128 v[32:35], v244 offset:14976
	ds_read_b128 v[40:43], v244 offset:18720
	ds_read_b128 v[52:55], v244 offset:22464
                                        ; implicit-def: $vgpr26_vgpr27
	s_and_saveexec_b32 s4, s1
	s_cbranch_execz .LBB0_19
; %bb.18:
	ds_read_b128 v[16:19], v244 offset:2912
	ds_read_b128 v[20:23], v244 offset:6656
	;; [unrolled: 1-line block ×7, first 2 shown]
.LBB0_19:
	s_or_b32 exec_lo, exec_lo, s4
	v_lshrrev_b16 v57, 1, v72
	v_mov_b32_e32 v62, 6
	s_mov_b32 s10, 0x37e14327
	s_mov_b32 s14, 0xe976ee23
	;; [unrolled: 1-line block ×3, first 2 shown]
	v_and_b32_e32 v57, 0x7f, v57
	s_mov_b32 s15, 0xbfe11646
	s_mov_b32 s6, 0x429ad128
	;; [unrolled: 1-line block ×4, first 2 shown]
	v_mul_lo_u16 v57, 0xd3, v57
	s_mov_b32 s5, 0x3fac98ee
	s_mov_b32 s12, 0xaaaaaaaa
	;; [unrolled: 1-line block ×4, first 2 shown]
	v_lshrrev_b16 v57, 13, v57
	s_mov_b32 s16, 0x5476071b
	s_mov_b32 s21, 0x3fd5d0dc
	;; [unrolled: 1-line block ×4, first 2 shown]
	v_mul_lo_u16 v61, 0x4e, v57
	s_mov_b32 s23, 0xbfd5d0dc
	s_mov_b32 s18, s16
	;; [unrolled: 1-line block ×4, first 2 shown]
	v_sub_nc_u16 v71, v72, v61
	s_mov_b32 s25, 0x3fdc38aa
	v_mul_u32_u24_sdwa v61, v71, v62 dst_sel:DWORD dst_unused:UNUSED_PAD src0_sel:BYTE_0 src1_sel:DWORD
	v_lshlrev_b32_e32 v69, 4, v61
	s_clause 0x5
	global_load_dwordx4 v[61:64], v69, s[8:9] offset:1040
	global_load_dwordx4 v[65:68], v69, s[8:9] offset:1056
	;; [unrolled: 1-line block ×6, first 2 shown]
	s_waitcnt vmcnt(0) lgkmcnt(0)
	s_barrier
	buffer_gl0_inv
	v_mul_f64 v[69:70], v[50:51], v[63:64]
	v_mul_f64 v[63:64], v[48:49], v[63:64]
	;; [unrolled: 1-line block ×12, first 2 shown]
	v_fma_f64 v[48:49], v[48:49], v[61:62], -v[69:70]
	v_fma_f64 v[50:51], v[50:51], v[61:62], v[63:64]
	v_fma_f64 v[44:45], v[44:45], v[65:66], -v[73:74]
	v_fma_f64 v[46:47], v[46:47], v[65:66], v[67:68]
	;; [unrolled: 2-line block ×6, first 2 shown]
	v_add_f64 v[61:62], v[48:49], v[52:53]
	v_add_f64 v[63:64], v[50:51], v[54:55]
	;; [unrolled: 1-line block ×4, first 2 shown]
	v_add_f64 v[40:41], v[44:45], -v[40:41]
	v_add_f64 v[42:43], v[46:47], -v[42:43]
	v_add_f64 v[44:45], v[36:37], v[32:33]
	v_add_f64 v[46:47], v[38:39], v[34:35]
	v_add_f64 v[32:33], v[32:33], -v[36:37]
	v_add_f64 v[34:35], v[34:35], -v[38:39]
	;; [unrolled: 1-line block ×4, first 2 shown]
	v_add_f64 v[48:49], v[65:66], v[61:62]
	v_add_f64 v[50:51], v[67:68], v[63:64]
	v_add_f64 v[52:53], v[61:62], -v[44:45]
	v_add_f64 v[54:55], v[63:64], -v[46:47]
	;; [unrolled: 1-line block ×6, first 2 shown]
	v_add_f64 v[40:41], v[32:33], v[40:41]
	v_add_f64 v[42:43], v[34:35], v[42:43]
	v_add_f64 v[32:33], v[36:37], -v[32:33]
	v_add_f64 v[34:35], v[38:39], -v[34:35]
	;; [unrolled: 1-line block ×4, first 2 shown]
	v_add_f64 v[48:49], v[44:45], v[48:49]
	v_add_f64 v[50:51], v[46:47], v[50:51]
	v_add_f64 v[44:45], v[44:45], -v[65:66]
	v_add_f64 v[46:47], v[46:47], -v[67:68]
	v_mul_f64 v[52:53], v[52:53], s[10:11]
	v_mul_f64 v[54:55], v[54:55], s[10:11]
	;; [unrolled: 1-line block ×6, first 2 shown]
	v_add_f64 v[36:37], v[40:41], v[36:37]
	v_add_f64 v[38:39], v[42:43], v[38:39]
	;; [unrolled: 1-line block ×4, first 2 shown]
	v_mul_f64 v[65:66], v[44:45], s[4:5]
	v_mul_f64 v[67:68], v[46:47], s[4:5]
	v_fma_f64 v[40:41], v[44:45], s[4:5], v[52:53]
	v_fma_f64 v[42:43], v[46:47], s[4:5], v[54:55]
	;; [unrolled: 1-line block ×4, first 2 shown]
	v_fma_f64 v[69:70], v[75:76], s[6:7], -v[69:70]
	v_fma_f64 v[73:74], v[77:78], s[6:7], -v[73:74]
	;; [unrolled: 1-line block ×6, first 2 shown]
	v_fma_f64 v[48:49], v[48:49], s[12:13], v[28:29]
	v_fma_f64 v[50:51], v[50:51], s[12:13], v[30:31]
	v_fma_f64 v[61:62], v[61:62], s[16:17], -v[65:66]
	v_fma_f64 v[63:64], v[63:64], s[16:17], -v[67:68]
	v_fma_f64 v[65:66], v[36:37], s[24:25], v[44:45]
	v_fma_f64 v[67:68], v[38:39], s[24:25], v[46:47]
	;; [unrolled: 1-line block ×6, first 2 shown]
	v_add_f64 v[75:76], v[40:41], v[48:49]
	v_add_f64 v[77:78], v[42:43], v[50:51]
	;; [unrolled: 1-line block ×6, first 2 shown]
	v_mov_b32_e32 v61, 0x2220
	v_mov_b32_e32 v62, 4
	v_mul_u32_u24_sdwa v57, v57, v61 dst_sel:DWORD dst_unused:UNUSED_PAD src0_sel:WORD_0 src1_sel:DWORD
	v_lshlrev_b32_sdwa v61, v62, v71 dst_sel:DWORD dst_unused:UNUSED_PAD src0_sel:DWORD src1_sel:BYTE_0
	v_add3_u32 v57, 0, v57, v61
	v_add_f64 v[32:33], v[67:68], v[75:76]
	v_add_f64 v[34:35], v[77:78], -v[65:66]
	v_add_f64 v[36:37], v[73:74], v[52:53]
	v_add_f64 v[38:39], v[54:55], -v[69:70]
	v_add_f64 v[40:41], v[48:49], -v[44:45]
	v_add_f64 v[42:43], v[46:47], v[50:51]
	v_add_f64 v[44:45], v[44:45], v[48:49]
	v_add_f64 v[46:47], v[50:51], -v[46:47]
	v_add_f64 v[48:49], v[52:53], -v[73:74]
	v_add_f64 v[50:51], v[69:70], v[54:55]
	v_add_f64 v[52:53], v[75:76], -v[67:68]
	v_add_f64 v[54:55], v[65:66], v[77:78]
	ds_write_b128 v57, v[28:31]
	ds_write_b128 v57, v[32:35] offset:1248
	ds_write_b128 v57, v[36:39] offset:2496
	;; [unrolled: 1-line block ×6, first 2 shown]
	s_and_saveexec_b32 s26, s1
	s_cbranch_execz .LBB0_21
; %bb.20:
	v_lshrrev_b16 v28, 1, v56
	v_mov_b32_e32 v29, 0x6907
	v_mul_u32_u24_sdwa v28, v28, v29 dst_sel:DWORD dst_unused:UNUSED_PAD src0_sel:WORD_0 src1_sel:DWORD
	v_lshrrev_b32_e32 v28, 20, v28
	v_mul_lo_u16 v28, 0x4e, v28
	v_sub_nc_u16 v28, v56, v28
	v_and_b32_e32 v57, 0xffff, v28
	v_mul_u32_u24_e32 v28, 6, v57
	v_lshlrev_b32_e32 v48, 4, v28
	s_clause 0x5
	global_load_dwordx4 v[28:31], v48, s[8:9] offset:1056
	global_load_dwordx4 v[32:35], v48, s[8:9] offset:1104
	;; [unrolled: 1-line block ×6, first 2 shown]
	s_waitcnt vmcnt(5)
	v_mul_f64 v[52:53], v[12:13], v[30:31]
	s_waitcnt vmcnt(4)
	v_mul_f64 v[54:55], v[8:9], v[34:35]
	s_waitcnt vmcnt(3)
	v_mul_f64 v[61:62], v[20:21], v[38:39]
	s_waitcnt vmcnt(2)
	v_mul_f64 v[63:64], v[24:25], v[42:43]
	v_mul_f64 v[30:31], v[14:15], v[30:31]
	v_mul_f64 v[34:35], v[10:11], v[34:35]
	;; [unrolled: 1-line block ×4, first 2 shown]
	s_waitcnt vmcnt(1)
	v_mul_f64 v[65:66], v[6:7], v[46:47]
	s_waitcnt vmcnt(0)
	v_mul_f64 v[67:68], v[2:3], v[50:51]
	v_mul_f64 v[50:51], v[0:1], v[50:51]
	;; [unrolled: 1-line block ×3, first 2 shown]
	v_fma_f64 v[14:15], v[14:15], v[28:29], v[52:53]
	v_fma_f64 v[10:11], v[10:11], v[32:33], v[54:55]
	;; [unrolled: 1-line block ×4, first 2 shown]
	v_fma_f64 v[12:13], v[12:13], v[28:29], -v[30:31]
	v_fma_f64 v[8:9], v[8:9], v[32:33], -v[34:35]
	;; [unrolled: 1-line block ×6, first 2 shown]
	v_fma_f64 v[2:3], v[2:3], v[48:49], v[50:51]
	v_fma_f64 v[6:7], v[6:7], v[44:45], v[46:47]
	v_add_f64 v[28:29], v[14:15], v[10:11]
	v_add_f64 v[30:31], v[22:23], v[26:27]
	;; [unrolled: 1-line block ×3, first 2 shown]
	v_add_f64 v[8:9], v[12:13], -v[8:9]
	v_add_f64 v[34:35], v[20:21], v[24:25]
	v_add_f64 v[36:37], v[4:5], -v[0:1]
	v_add_f64 v[0:1], v[0:1], v[4:5]
	v_add_f64 v[12:13], v[2:3], v[6:7]
	v_add_f64 v[4:5], v[20:21], -v[24:25]
	v_add_f64 v[2:3], v[6:7], -v[2:3]
	;; [unrolled: 1-line block ×4, first 2 shown]
	v_add_f64 v[20:21], v[28:29], v[30:31]
	v_add_f64 v[14:15], v[32:33], v[34:35]
	v_add_f64 v[22:23], v[36:37], -v[8:9]
	v_add_f64 v[26:27], v[34:35], -v[0:1]
	;; [unrolled: 1-line block ×7, first 2 shown]
	v_add_f64 v[8:9], v[36:37], v[8:9]
	v_add_f64 v[36:37], v[4:5], -v[36:37]
	v_add_f64 v[6:7], v[2:3], v[6:7]
	v_add_f64 v[48:49], v[10:11], -v[2:3]
	;; [unrolled: 2-line block ×3, first 2 shown]
	v_add_f64 v[14:15], v[0:1], v[14:15]
	v_mul_f64 v[22:23], v[22:23], s[14:15]
	v_mul_f64 v[26:27], v[26:27], s[10:11]
	;; [unrolled: 1-line block ×4, first 2 shown]
	v_add_f64 v[4:5], v[8:9], v[4:5]
	v_add_f64 v[6:7], v[6:7], v[10:11]
	;; [unrolled: 1-line block ×3, first 2 shown]
	v_add_f64 v[18:19], v[28:29], -v[30:31]
	v_mul_f64 v[28:29], v[12:13], s[4:5]
	v_mul_f64 v[30:31], v[40:41], s[14:15]
	v_add_f64 v[0:1], v[16:17], v[14:15]
	v_mul_f64 v[40:41], v[42:43], s[6:7]
	v_add_f64 v[16:17], v[32:33], -v[34:35]
	v_mul_f64 v[32:33], v[44:45], s[4:5]
	v_fma_f64 v[8:9], v[36:37], s[20:21], v[22:23]
	v_fma_f64 v[10:11], v[12:13], s[4:5], v[24:25]
	;; [unrolled: 1-line block ×3, first 2 shown]
	v_fma_f64 v[34:35], v[36:37], s[22:23], -v[46:47]
	v_fma_f64 v[22:23], v[38:39], s[6:7], -v[22:23]
	v_fma_f64 v[20:21], v[20:21], s[12:13], v[2:3]
	v_fma_f64 v[24:25], v[18:19], s[18:19], -v[24:25]
	v_fma_f64 v[18:19], v[18:19], s[16:17], -v[28:29]
	v_fma_f64 v[28:29], v[48:49], s[20:21], v[30:31]
	v_fma_f64 v[14:15], v[14:15], s[12:13], v[0:1]
	v_fma_f64 v[36:37], v[48:49], s[22:23], -v[40:41]
	v_fma_f64 v[26:27], v[16:17], s[18:19], -v[26:27]
	;; [unrolled: 1-line block ×4, first 2 shown]
	v_fma_f64 v[8:9], v[4:5], s[24:25], v[8:9]
	v_fma_f64 v[32:33], v[4:5], s[24:25], v[34:35]
	;; [unrolled: 1-line block ×3, first 2 shown]
	v_add_f64 v[34:35], v[10:11], v[20:21]
	v_add_f64 v[22:23], v[24:25], v[20:21]
	;; [unrolled: 1-line block ×3, first 2 shown]
	v_fma_f64 v[28:29], v[6:7], s[24:25], v[28:29]
	v_add_f64 v[38:39], v[12:13], v[14:15]
	v_fma_f64 v[36:37], v[6:7], s[24:25], v[36:37]
	v_add_f64 v[40:41], v[26:27], v[14:15]
	;; [unrolled: 2-line block ×3, first 2 shown]
	v_add_f64 v[26:27], v[34:35], -v[8:9]
	v_add_f64 v[10:11], v[32:33], v[22:23]
	v_add_f64 v[22:23], v[22:23], -v[32:33]
	v_add_f64 v[14:15], v[18:19], -v[4:5]
	v_add_f64 v[24:25], v[28:29], v[38:39]
	v_add_f64 v[18:19], v[4:5], v[18:19]
	;; [unrolled: 1-line block ×4, first 2 shown]
	v_add_f64 v[16:17], v[12:13], -v[30:31]
	v_add_f64 v[12:13], v[30:31], v[12:13]
	v_add_f64 v[8:9], v[40:41], -v[36:37]
	v_add_f64 v[4:5], v[38:39], -v[28:29]
	v_lshl_add_u32 v28, v57, 4, 0
	ds_write_b128 v28, v[0:3] offset:17472
	ds_write_b128 v28, v[24:27] offset:18720
	;; [unrolled: 1-line block ×7, first 2 shown]
.LBB0_21:
	s_or_b32 exec_lo, exec_lo, s26
	v_lshlrev_b32_e32 v0, 1, v72
	v_mov_b32_e32 v1, 0
	s_waitcnt lgkmcnt(0)
	s_barrier
	buffer_gl0_inv
	s_mov_b32 s4, 0xe8584caa
	v_lshlrev_b64 v[2:3], 4, v[0:1]
	v_lshlrev_b32_e32 v0, 1, v56
	s_mov_b32 s5, 0x3febb67a
	s_mov_b32 s7, 0xbfebb67a
	;; [unrolled: 1-line block ×3, first 2 shown]
	v_add_co_u32 v4, s1, s8, v2
	v_add_co_ci_u32_e64 v5, s1, s9, v3, s1
	v_lshlrev_b64 v[10:11], 4, v[0:1]
	v_add_co_u32 v2, s1, 0x2000, v4
	v_add_co_ci_u32_e64 v3, s1, 0, v5, s1
	v_add_co_u32 v6, s1, 0x2150, v4
	v_lshlrev_b32_e32 v0, 1, v60
	v_add_co_ci_u32_e64 v7, s1, 0, v5, s1
	v_add_co_u32 v12, s1, s8, v10
	v_add_co_ci_u32_e64 v13, s1, s9, v11, s1
	v_lshlrev_b64 v[10:11], 4, v[0:1]
	v_add_co_u32 v14, s1, 0x2150, v12
	v_add_co_ci_u32_e64 v15, s1, 0, v13, s1
	s_clause 0x1
	global_load_dwordx4 v[2:5], v[2:3], off offset:336
	global_load_dwordx4 v[6:9], v[6:7], off offset:16
	v_add_co_u32 v0, s1, s8, v10
	v_add_co_ci_u32_e64 v16, s1, s9, v11, s1
	v_add_co_u32 v10, s1, 0x2000, v12
	v_add_co_ci_u32_e64 v11, s1, 0, v13, s1
	;; [unrolled: 2-line block ×4, first 2 shown]
	s_clause 0x3
	global_load_dwordx4 v[10:13], v[10:11], off offset:336
	global_load_dwordx4 v[14:17], v[14:15], off offset:16
	global_load_dwordx4 v[18:21], v[18:19], off offset:336
	global_load_dwordx4 v[22:25], v[22:23], off offset:16
	ds_read_b128 v[26:29], v244 offset:8736
	ds_read_b128 v[30:33], v244 offset:17472
	;; [unrolled: 1-line block ×7, first 2 shown]
	v_lshlrev_b32_e32 v0, 4, v72
	s_waitcnt vmcnt(5) lgkmcnt(6)
	v_mul_f64 v[54:55], v[28:29], v[4:5]
	s_waitcnt vmcnt(4) lgkmcnt(5)
	v_mul_f64 v[61:62], v[32:33], v[8:9]
	v_mul_f64 v[4:5], v[26:27], v[4:5]
	v_mul_f64 v[8:9], v[30:31], v[8:9]
	s_waitcnt vmcnt(3) lgkmcnt(4)
	v_mul_f64 v[63:64], v[36:37], v[12:13]
	s_waitcnt vmcnt(2) lgkmcnt(3)
	v_mul_f64 v[65:66], v[40:41], v[16:17]
	v_mul_f64 v[12:13], v[34:35], v[12:13]
	v_mul_f64 v[16:17], v[38:39], v[16:17]
	;; [unrolled: 6-line block ×3, first 2 shown]
	v_fma_f64 v[26:27], v[26:27], v[2:3], -v[54:55]
	v_fma_f64 v[30:31], v[30:31], v[6:7], -v[61:62]
	v_fma_f64 v[28:29], v[28:29], v[2:3], v[4:5]
	v_fma_f64 v[32:33], v[32:33], v[6:7], v[8:9]
	ds_read_b128 v[2:5], v244
	ds_read_b128 v[6:9], v244 offset:2912
	s_waitcnt lgkmcnt(0)
	s_barrier
	buffer_gl0_inv
	v_fma_f64 v[34:35], v[34:35], v[10:11], -v[63:64]
	v_fma_f64 v[38:39], v[38:39], v[14:15], -v[65:66]
	v_fma_f64 v[10:11], v[36:37], v[10:11], v[12:13]
	v_fma_f64 v[12:13], v[40:41], v[14:15], v[16:17]
	v_fma_f64 v[14:15], v[42:43], v[18:19], -v[67:68]
	v_fma_f64 v[16:17], v[46:47], v[22:23], -v[69:70]
	v_fma_f64 v[18:19], v[44:45], v[18:19], v[20:21]
	v_fma_f64 v[20:21], v[48:49], v[22:23], v[24:25]
	v_add_f64 v[22:23], v[26:27], v[30:31]
	v_add_f64 v[46:47], v[2:3], v[26:27]
	;; [unrolled: 1-line block ×3, first 2 shown]
	v_add_f64 v[48:49], v[28:29], -v[32:33]
	v_add_f64 v[28:29], v[4:5], v[28:29]
	v_add_f64 v[26:27], v[26:27], -v[30:31]
	v_add_f64 v[54:55], v[6:7], v[34:35]
	v_add_f64 v[36:37], v[34:35], v[38:39]
	;; [unrolled: 1-line block ×8, first 2 shown]
	v_add_f64 v[67:68], v[10:11], -v[12:13]
	v_fma_f64 v[22:23], v[22:23], -0.5, v[2:3]
	v_add_f64 v[34:35], v[34:35], -v[38:39]
	v_fma_f64 v[24:25], v[24:25], -0.5, v[4:5]
	v_add_f64 v[69:70], v[18:19], -v[20:21]
	v_add_f64 v[2:3], v[46:47], v[30:31]
	v_add_f64 v[4:5], v[28:29], v[32:33]
	v_fma_f64 v[36:37], v[36:37], -0.5, v[6:7]
	v_add_f64 v[6:7], v[54:55], v[38:39]
	v_fma_f64 v[40:41], v[40:41], -0.5, v[8:9]
	;; [unrolled: 2-line block ×3, first 2 shown]
	v_add_f64 v[50:51], v[14:15], -v[16:17]
	v_fma_f64 v[44:45], v[44:45], -0.5, v[52:53]
	v_add_f64 v[10:11], v[63:64], v[16:17]
	v_add_f64 v[12:13], v[65:66], v[20:21]
	v_fma_f64 v[14:15], v[48:49], s[4:5], v[22:23]
	v_fma_f64 v[16:17], v[26:27], s[6:7], v[24:25]
	;; [unrolled: 1-line block ×12, first 2 shown]
	ds_write_b128 v244, v[2:5]
	ds_write_b128 v244, v[6:9] offset:2912
	ds_write_b128 v244, v[10:13] offset:5824
	;; [unrolled: 1-line block ×8, first 2 shown]
	s_waitcnt lgkmcnt(0)
	s_barrier
	buffer_gl0_inv
	ds_read_b128 v[4:7], v244
	v_sub_nc_u32_e32 v10, 0, v0
	s_add_u32 s4, s8, 0x6590
	s_addc_u32 s5, s9, 0
	s_mov_b32 s6, exec_lo
                                        ; implicit-def: $vgpr2_vgpr3
                                        ; implicit-def: $vgpr8_vgpr9
	v_cmpx_ne_u32_e32 0, v72
	s_xor_b32 s6, exec_lo, s6
	s_cbranch_execz .LBB0_23
; %bb.22:
	v_mov_b32_e32 v73, v1
	v_lshlrev_b64 v[0:1], 4, v[72:73]
	v_add_co_u32 v0, s1, s4, v0
	v_add_co_ci_u32_e64 v1, s1, s5, v1, s1
	global_load_dwordx4 v[11:14], v[0:1], off
	ds_read_b128 v[0:3], v10 offset:26208
	s_waitcnt lgkmcnt(0)
	v_add_f64 v[8:9], v[4:5], -v[0:1]
	v_add_f64 v[15:16], v[6:7], v[2:3]
	v_add_f64 v[2:3], v[6:7], -v[2:3]
	v_add_f64 v[0:1], v[4:5], v[0:1]
	v_mul_f64 v[6:7], v[8:9], 0.5
	v_mul_f64 v[4:5], v[15:16], 0.5
	;; [unrolled: 1-line block ×3, first 2 shown]
	s_waitcnt vmcnt(0)
	v_mul_f64 v[8:9], v[6:7], v[13:14]
	v_fma_f64 v[15:16], v[4:5], v[13:14], v[2:3]
	v_fma_f64 v[2:3], v[4:5], v[13:14], -v[2:3]
	v_fma_f64 v[17:18], v[0:1], 0.5, v[8:9]
	v_fma_f64 v[0:1], v[0:1], 0.5, -v[8:9]
	v_fma_f64 v[8:9], -v[11:12], v[6:7], v[15:16]
	v_fma_f64 v[2:3], -v[11:12], v[6:7], v[2:3]
	v_fma_f64 v[13:14], v[4:5], v[11:12], v[17:18]
	v_fma_f64 v[0:1], -v[4:5], v[11:12], v[0:1]
                                        ; implicit-def: $vgpr4_vgpr5
	ds_write_b64 v244, v[13:14]
.LBB0_23:
	s_andn2_saveexec_b32 s1, s6
	s_cbranch_execz .LBB0_25
; %bb.24:
	v_mov_b32_e32 v15, 0
	s_waitcnt lgkmcnt(0)
	v_add_f64 v[13:14], v[4:5], v[6:7]
	v_add_f64 v[0:1], v[4:5], -v[6:7]
	v_mov_b32_e32 v8, 0
	v_mov_b32_e32 v9, 0
	ds_read_b64 v[11:12], v15 offset:13112
	v_mov_b32_e32 v2, v8
	v_mov_b32_e32 v3, v9
	s_waitcnt lgkmcnt(0)
	v_xor_b32_e32 v12, 0x80000000, v12
	ds_write_b64 v244, v[13:14]
	ds_write_b64 v15, v[11:12] offset:13112
.LBB0_25:
	s_or_b32 exec_lo, exec_lo, s1
	v_mov_b32_e32 v57, 0
	ds_write_b64 v244, v[8:9] offset:8
	ds_write_b128 v10, v[0:3] offset:26208
	s_waitcnt lgkmcnt(2)
	v_lshlrev_b64 v[4:5], 4, v[56:57]
	v_mov_b32_e32 v61, v57
	v_lshlrev_b64 v[11:12], 4, v[60:61]
	v_add_co_u32 v4, s1, s4, v4
	v_add_co_ci_u32_e64 v5, s1, s5, v5, s1
	v_mov_b32_e32 v60, v57
	v_add_co_u32 v11, s1, s4, v11
	global_load_dwordx4 v[4:7], v[4:5], off
	v_add_co_ci_u32_e64 v12, s1, s5, v12, s1
	v_lshlrev_b64 v[8:9], 4, v[59:60]
	global_load_dwordx4 v[11:14], v[11:12], off
	ds_read_b128 v[0:3], v244 offset:2912
	ds_read_b128 v[15:18], v10 offset:23296
	v_add_co_u32 v8, s1, s4, v8
	v_add_co_ci_u32_e64 v9, s1, s5, v9, s1
	global_load_dwordx4 v[19:22], v[8:9], off
	s_waitcnt lgkmcnt(0)
	v_add_f64 v[8:9], v[0:1], -v[15:16]
	v_add_f64 v[23:24], v[2:3], v[17:18]
	v_add_f64 v[2:3], v[2:3], -v[17:18]
	v_add_f64 v[0:1], v[0:1], v[15:16]
	v_mul_f64 v[8:9], v[8:9], 0.5
	v_mul_f64 v[17:18], v[23:24], 0.5
	;; [unrolled: 1-line block ×3, first 2 shown]
	s_waitcnt vmcnt(2)
	v_mul_f64 v[15:16], v[8:9], v[6:7]
	v_fma_f64 v[23:24], v[17:18], v[6:7], v[2:3]
	v_fma_f64 v[6:7], v[17:18], v[6:7], -v[2:3]
	v_fma_f64 v[25:26], v[0:1], 0.5, v[15:16]
	v_fma_f64 v[15:16], v[0:1], 0.5, -v[15:16]
	v_fma_f64 v[2:3], -v[4:5], v[8:9], v[23:24]
	v_fma_f64 v[6:7], -v[4:5], v[8:9], v[6:7]
	v_fma_f64 v[0:1], v[17:18], v[4:5], v[25:26]
	v_fma_f64 v[4:5], -v[17:18], v[4:5], v[15:16]
	ds_write_b128 v244, v[0:3] offset:2912
	ds_write_b128 v10, v[4:7] offset:23296
	ds_read_b128 v[0:3], v244 offset:5824
	ds_read_b128 v[4:7], v10 offset:20384
	s_waitcnt lgkmcnt(0)
	v_add_f64 v[8:9], v[0:1], -v[4:5]
	v_add_f64 v[15:16], v[2:3], v[6:7]
	v_add_f64 v[2:3], v[2:3], -v[6:7]
	v_add_f64 v[0:1], v[0:1], v[4:5]
	v_mul_f64 v[6:7], v[8:9], 0.5
	v_mul_f64 v[8:9], v[15:16], 0.5
	;; [unrolled: 1-line block ×3, first 2 shown]
	s_waitcnt vmcnt(1)
	v_mul_f64 v[4:5], v[6:7], v[13:14]
	v_fma_f64 v[15:16], v[8:9], v[13:14], v[2:3]
	v_fma_f64 v[13:14], v[8:9], v[13:14], -v[2:3]
	v_fma_f64 v[17:18], v[0:1], 0.5, v[4:5]
	v_fma_f64 v[4:5], v[0:1], 0.5, -v[4:5]
	v_fma_f64 v[2:3], -v[11:12], v[6:7], v[15:16]
	v_fma_f64 v[6:7], -v[11:12], v[6:7], v[13:14]
	v_fma_f64 v[0:1], v[8:9], v[11:12], v[17:18]
	v_fma_f64 v[4:5], -v[8:9], v[11:12], v[4:5]
	ds_write_b128 v244, v[0:3] offset:5824
	ds_write_b128 v10, v[4:7] offset:20384
	ds_read_b128 v[0:3], v244 offset:8736
	ds_read_b128 v[4:7], v10 offset:17472
	s_waitcnt lgkmcnt(0)
	v_add_f64 v[8:9], v[0:1], -v[4:5]
	v_add_f64 v[11:12], v[2:3], v[6:7]
	v_add_f64 v[2:3], v[2:3], -v[6:7]
	v_add_f64 v[0:1], v[0:1], v[4:5]
	v_mul_f64 v[6:7], v[8:9], 0.5
	v_mul_f64 v[8:9], v[11:12], 0.5
	;; [unrolled: 1-line block ×3, first 2 shown]
	s_waitcnt vmcnt(0)
	v_mul_f64 v[4:5], v[6:7], v[21:22]
	v_fma_f64 v[11:12], v[8:9], v[21:22], v[2:3]
	v_fma_f64 v[13:14], v[8:9], v[21:22], -v[2:3]
	v_fma_f64 v[15:16], v[0:1], 0.5, v[4:5]
	v_fma_f64 v[4:5], v[0:1], 0.5, -v[4:5]
	v_fma_f64 v[2:3], -v[19:20], v[6:7], v[11:12]
	v_fma_f64 v[6:7], -v[19:20], v[6:7], v[13:14]
	v_fma_f64 v[0:1], v[8:9], v[19:20], v[15:16]
	v_fma_f64 v[4:5], -v[8:9], v[19:20], v[4:5]
	ds_write_b128 v244, v[0:3] offset:8736
	ds_write_b128 v10, v[4:7] offset:17472
	s_and_saveexec_b32 s1, s0
	s_cbranch_execz .LBB0_27
; %bb.26:
	v_mov_b32_e32 v59, v57
	v_lshlrev_b64 v[0:1], 4, v[58:59]
	v_add_co_u32 v0, s0, s4, v0
	v_add_co_ci_u32_e64 v1, s0, s5, v1, s0
	global_load_dwordx4 v[0:3], v[0:1], off
	ds_read_b128 v[4:7], v244 offset:11648
	ds_read_b128 v[11:14], v10 offset:14560
	s_waitcnt lgkmcnt(0)
	v_add_f64 v[8:9], v[4:5], -v[11:12]
	v_add_f64 v[15:16], v[6:7], v[13:14]
	v_add_f64 v[6:7], v[6:7], -v[13:14]
	v_add_f64 v[4:5], v[4:5], v[11:12]
	v_mul_f64 v[8:9], v[8:9], 0.5
	v_mul_f64 v[13:14], v[15:16], 0.5
	;; [unrolled: 1-line block ×3, first 2 shown]
	s_waitcnt vmcnt(0)
	v_mul_f64 v[11:12], v[8:9], v[2:3]
	v_fma_f64 v[15:16], v[13:14], v[2:3], v[6:7]
	v_fma_f64 v[2:3], v[13:14], v[2:3], -v[6:7]
	v_fma_f64 v[6:7], v[4:5], 0.5, v[11:12]
	v_fma_f64 v[11:12], v[4:5], 0.5, -v[11:12]
	v_fma_f64 v[4:5], -v[0:1], v[8:9], v[15:16]
	v_fma_f64 v[8:9], -v[0:1], v[8:9], v[2:3]
	v_fma_f64 v[2:3], v[13:14], v[0:1], v[6:7]
	v_fma_f64 v[6:7], -v[13:14], v[0:1], v[11:12]
	ds_write_b128 v244, v[2:5] offset:11648
	ds_write_b128 v10, v[6:9] offset:14560
.LBB0_27:
	s_or_b32 exec_lo, exec_lo, s1
	s_waitcnt lgkmcnt(0)
	s_barrier
	buffer_gl0_inv
	s_and_saveexec_b32 s0, vcc_lo
	s_cbranch_execz .LBB0_30
; %bb.28:
	ds_read_b128 v[2:5], v244
	s_clause 0x1
	buffer_load_dword v0, off, s[44:47], 0
	buffer_load_dword v1, off, s[44:47], 0 offset:4
	v_mov_b32_e32 v73, 0
	ds_read_b128 v[6:9], v244 offset:2912
	ds_read_b128 v[10:13], v244 offset:5824
	ds_read_b128 v[14:17], v244 offset:8736
	v_lshlrev_b64 v[18:19], 4, v[72:73]
	s_waitcnt vmcnt(1)
	v_add_co_u32 v0, vcc_lo, s2, v0
	s_waitcnt vmcnt(0)
	v_add_co_ci_u32_e32 v1, vcc_lo, s3, v1, vcc_lo
	v_add_co_u32 v22, vcc_lo, v0, v18
	v_add_co_ci_u32_e32 v23, vcc_lo, v1, v19, vcc_lo
	ds_read_b128 v[18:21], v244 offset:11648
	v_add_co_u32 v24, vcc_lo, 0x800, v22
	v_add_co_ci_u32_e32 v25, vcc_lo, 0, v23, vcc_lo
	s_waitcnt lgkmcnt(4)
	global_store_dwordx4 v[22:23], v[2:5], off
	v_add_co_u32 v2, vcc_lo, 0x1000, v22
	v_add_co_ci_u32_e32 v3, vcc_lo, 0, v23, vcc_lo
	v_add_co_u32 v4, vcc_lo, 0x2000, v22
	v_add_co_ci_u32_e32 v5, vcc_lo, 0, v23, vcc_lo
	;; [unrolled: 2-line block ×3, first 2 shown]
	s_waitcnt lgkmcnt(3)
	global_store_dwordx4 v[24:25], v[6:9], off offset:864
	s_waitcnt lgkmcnt(2)
	global_store_dwordx4 v[2:3], v[10:13], off offset:1728
	;; [unrolled: 2-line block ×3, first 2 shown]
	ds_read_b128 v[2:5], v244 offset:14560
	s_waitcnt lgkmcnt(1)
	global_store_dwordx4 v[26:27], v[18:21], off offset:1408
	ds_read_b128 v[6:9], v244 offset:17472
	ds_read_b128 v[10:13], v244 offset:20384
	;; [unrolled: 1-line block ×3, first 2 shown]
	v_add_co_u32 v18, vcc_lo, 0x3800, v22
	v_add_co_ci_u32_e32 v19, vcc_lo, 0, v23, vcc_lo
	v_add_co_u32 v20, vcc_lo, 0x4000, v22
	v_add_co_ci_u32_e32 v21, vcc_lo, 0, v23, vcc_lo
	;; [unrolled: 2-line block ×4, first 2 shown]
	v_cmp_eq_u32_e32 vcc_lo, 0xb5, v72
	s_waitcnt lgkmcnt(3)
	global_store_dwordx4 v[18:19], v[2:5], off offset:224
	s_waitcnt lgkmcnt(2)
	global_store_dwordx4 v[20:21], v[6:9], off offset:1088
	;; [unrolled: 2-line block ×4, first 2 shown]
	s_and_b32 exec_lo, exec_lo, vcc_lo
	s_cbranch_execz .LBB0_30
; %bb.29:
	ds_read_b128 v[2:5], v73 offset:26208
	v_add_co_u32 v0, vcc_lo, 0x6000, v0
	v_add_co_ci_u32_e32 v1, vcc_lo, 0, v1, vcc_lo
	s_waitcnt lgkmcnt(0)
	global_store_dwordx4 v[0:1], v[2:5], off offset:1632
.LBB0_30:
	s_endpgm
	.section	.rodata,"a",@progbits
	.p2align	6, 0x0
	.amdhsa_kernel fft_rtc_fwd_len1638_factors_13_2_3_7_3_wgs_182_tpt_182_halfLds_dp_ip_CI_unitstride_sbrr_R2C_dirReg
		.amdhsa_group_segment_fixed_size 0
		.amdhsa_private_segment_fixed_size 28
		.amdhsa_kernarg_size 88
		.amdhsa_user_sgpr_count 6
		.amdhsa_user_sgpr_private_segment_buffer 1
		.amdhsa_user_sgpr_dispatch_ptr 0
		.amdhsa_user_sgpr_queue_ptr 0
		.amdhsa_user_sgpr_kernarg_segment_ptr 1
		.amdhsa_user_sgpr_dispatch_id 0
		.amdhsa_user_sgpr_flat_scratch_init 0
		.amdhsa_user_sgpr_private_segment_size 0
		.amdhsa_wavefront_size32 1
		.amdhsa_uses_dynamic_stack 0
		.amdhsa_system_sgpr_private_segment_wavefront_offset 1
		.amdhsa_system_sgpr_workgroup_id_x 1
		.amdhsa_system_sgpr_workgroup_id_y 0
		.amdhsa_system_sgpr_workgroup_id_z 0
		.amdhsa_system_sgpr_workgroup_info 0
		.amdhsa_system_vgpr_workitem_id 0
		.amdhsa_next_free_vgpr 255
		.amdhsa_next_free_sgpr 48
		.amdhsa_reserve_vcc 1
		.amdhsa_reserve_flat_scratch 0
		.amdhsa_float_round_mode_32 0
		.amdhsa_float_round_mode_16_64 0
		.amdhsa_float_denorm_mode_32 3
		.amdhsa_float_denorm_mode_16_64 3
		.amdhsa_dx10_clamp 1
		.amdhsa_ieee_mode 1
		.amdhsa_fp16_overflow 0
		.amdhsa_workgroup_processor_mode 1
		.amdhsa_memory_ordered 1
		.amdhsa_forward_progress 0
		.amdhsa_shared_vgpr_count 0
		.amdhsa_exception_fp_ieee_invalid_op 0
		.amdhsa_exception_fp_denorm_src 0
		.amdhsa_exception_fp_ieee_div_zero 0
		.amdhsa_exception_fp_ieee_overflow 0
		.amdhsa_exception_fp_ieee_underflow 0
		.amdhsa_exception_fp_ieee_inexact 0
		.amdhsa_exception_int_div_zero 0
	.end_amdhsa_kernel
	.text
.Lfunc_end0:
	.size	fft_rtc_fwd_len1638_factors_13_2_3_7_3_wgs_182_tpt_182_halfLds_dp_ip_CI_unitstride_sbrr_R2C_dirReg, .Lfunc_end0-fft_rtc_fwd_len1638_factors_13_2_3_7_3_wgs_182_tpt_182_halfLds_dp_ip_CI_unitstride_sbrr_R2C_dirReg
                                        ; -- End function
	.section	.AMDGPU.csdata,"",@progbits
; Kernel info:
; codeLenInByte = 12972
; NumSgprs: 50
; NumVgprs: 255
; ScratchSize: 28
; MemoryBound: 0
; FloatMode: 240
; IeeeMode: 1
; LDSByteSize: 0 bytes/workgroup (compile time only)
; SGPRBlocks: 6
; VGPRBlocks: 31
; NumSGPRsForWavesPerEU: 50
; NumVGPRsForWavesPerEU: 255
; Occupancy: 4
; WaveLimiterHint : 1
; COMPUTE_PGM_RSRC2:SCRATCH_EN: 1
; COMPUTE_PGM_RSRC2:USER_SGPR: 6
; COMPUTE_PGM_RSRC2:TRAP_HANDLER: 0
; COMPUTE_PGM_RSRC2:TGID_X_EN: 1
; COMPUTE_PGM_RSRC2:TGID_Y_EN: 0
; COMPUTE_PGM_RSRC2:TGID_Z_EN: 0
; COMPUTE_PGM_RSRC2:TIDIG_COMP_CNT: 0
	.text
	.p2alignl 6, 3214868480
	.fill 48, 4, 3214868480
	.type	__hip_cuid_bba31f9677471d43,@object ; @__hip_cuid_bba31f9677471d43
	.section	.bss,"aw",@nobits
	.globl	__hip_cuid_bba31f9677471d43
__hip_cuid_bba31f9677471d43:
	.byte	0                               ; 0x0
	.size	__hip_cuid_bba31f9677471d43, 1

	.ident	"AMD clang version 19.0.0git (https://github.com/RadeonOpenCompute/llvm-project roc-6.4.0 25133 c7fe45cf4b819c5991fe208aaa96edf142730f1d)"
	.section	".note.GNU-stack","",@progbits
	.addrsig
	.addrsig_sym __hip_cuid_bba31f9677471d43
	.amdgpu_metadata
---
amdhsa.kernels:
  - .args:
      - .actual_access:  read_only
        .address_space:  global
        .offset:         0
        .size:           8
        .value_kind:     global_buffer
      - .offset:         8
        .size:           8
        .value_kind:     by_value
      - .actual_access:  read_only
        .address_space:  global
        .offset:         16
        .size:           8
        .value_kind:     global_buffer
      - .actual_access:  read_only
        .address_space:  global
        .offset:         24
        .size:           8
        .value_kind:     global_buffer
      - .offset:         32
        .size:           8
        .value_kind:     by_value
      - .actual_access:  read_only
        .address_space:  global
        .offset:         40
        .size:           8
        .value_kind:     global_buffer
      - .actual_access:  read_only
        .address_space:  global
        .offset:         48
        .size:           8
        .value_kind:     global_buffer
      - .offset:         56
        .size:           4
        .value_kind:     by_value
      - .actual_access:  read_only
        .address_space:  global
        .offset:         64
        .size:           8
        .value_kind:     global_buffer
      - .actual_access:  read_only
        .address_space:  global
        .offset:         72
        .size:           8
        .value_kind:     global_buffer
      - .address_space:  global
        .offset:         80
        .size:           8
        .value_kind:     global_buffer
    .group_segment_fixed_size: 0
    .kernarg_segment_align: 8
    .kernarg_segment_size: 88
    .language:       OpenCL C
    .language_version:
      - 2
      - 0
    .max_flat_workgroup_size: 182
    .name:           fft_rtc_fwd_len1638_factors_13_2_3_7_3_wgs_182_tpt_182_halfLds_dp_ip_CI_unitstride_sbrr_R2C_dirReg
    .private_segment_fixed_size: 28
    .sgpr_count:     50
    .sgpr_spill_count: 0
    .symbol:         fft_rtc_fwd_len1638_factors_13_2_3_7_3_wgs_182_tpt_182_halfLds_dp_ip_CI_unitstride_sbrr_R2C_dirReg.kd
    .uniform_work_group_size: 1
    .uses_dynamic_stack: false
    .vgpr_count:     255
    .vgpr_spill_count: 6
    .wavefront_size: 32
    .workgroup_processor_mode: 1
amdhsa.target:   amdgcn-amd-amdhsa--gfx1030
amdhsa.version:
  - 1
  - 2
...

	.end_amdgpu_metadata
